;; amdgpu-corpus repo=ROCm/rocFFT kind=compiled arch=gfx1030 opt=O3
	.text
	.amdgcn_target "amdgcn-amd-amdhsa--gfx1030"
	.amdhsa_code_object_version 6
	.protected	fft_rtc_fwd_len2916_factors_6_6_3_3_3_3_wgs_243_tpt_243_halfLds_half_ip_CI_unitstride_sbrr_R2C_dirReg ; -- Begin function fft_rtc_fwd_len2916_factors_6_6_3_3_3_3_wgs_243_tpt_243_halfLds_half_ip_CI_unitstride_sbrr_R2C_dirReg
	.globl	fft_rtc_fwd_len2916_factors_6_6_3_3_3_3_wgs_243_tpt_243_halfLds_half_ip_CI_unitstride_sbrr_R2C_dirReg
	.p2align	8
	.type	fft_rtc_fwd_len2916_factors_6_6_3_3_3_3_wgs_243_tpt_243_halfLds_half_ip_CI_unitstride_sbrr_R2C_dirReg,@function
fft_rtc_fwd_len2916_factors_6_6_3_3_3_3_wgs_243_tpt_243_halfLds_half_ip_CI_unitstride_sbrr_R2C_dirReg: ; @fft_rtc_fwd_len2916_factors_6_6_3_3_3_3_wgs_243_tpt_243_halfLds_half_ip_CI_unitstride_sbrr_R2C_dirReg
; %bb.0:
	s_clause 0x2
	s_load_dwordx4 s[8:11], s[4:5], 0x0
	s_load_dwordx2 s[2:3], s[4:5], 0x50
	s_load_dwordx2 s[12:13], s[4:5], 0x18
	v_mul_u32_u24_e32 v1, 0x10e, v0
	v_mov_b32_e32 v3, 0
	v_add_nc_u32_sdwa v5, s6, v1 dst_sel:DWORD dst_unused:UNUSED_PAD src0_sel:DWORD src1_sel:WORD_1
	v_mov_b32_e32 v1, 0
	v_mov_b32_e32 v6, v3
	v_mov_b32_e32 v2, 0
	s_waitcnt lgkmcnt(0)
	v_cmp_lt_u64_e64 s0, s[10:11], 2
	s_and_b32 vcc_lo, exec_lo, s0
	s_cbranch_vccnz .LBB0_8
; %bb.1:
	s_load_dwordx2 s[0:1], s[4:5], 0x10
	v_mov_b32_e32 v1, 0
	s_add_u32 s6, s12, 8
	v_mov_b32_e32 v2, 0
	s_addc_u32 s7, s13, 0
	s_mov_b64 s[16:17], 1
	s_waitcnt lgkmcnt(0)
	s_add_u32 s14, s0, 8
	s_addc_u32 s15, s1, 0
.LBB0_2:                                ; =>This Inner Loop Header: Depth=1
	s_load_dwordx2 s[18:19], s[14:15], 0x0
                                        ; implicit-def: $vgpr8_vgpr9
	s_mov_b32 s0, exec_lo
	s_waitcnt lgkmcnt(0)
	v_or_b32_e32 v4, s19, v6
	v_cmpx_ne_u64_e32 0, v[3:4]
	s_xor_b32 s1, exec_lo, s0
	s_cbranch_execz .LBB0_4
; %bb.3:                                ;   in Loop: Header=BB0_2 Depth=1
	v_cvt_f32_u32_e32 v4, s18
	v_cvt_f32_u32_e32 v7, s19
	s_sub_u32 s0, 0, s18
	s_subb_u32 s20, 0, s19
	v_fmac_f32_e32 v4, 0x4f800000, v7
	v_rcp_f32_e32 v4, v4
	v_mul_f32_e32 v4, 0x5f7ffffc, v4
	v_mul_f32_e32 v7, 0x2f800000, v4
	v_trunc_f32_e32 v7, v7
	v_fmac_f32_e32 v4, 0xcf800000, v7
	v_cvt_u32_f32_e32 v7, v7
	v_cvt_u32_f32_e32 v4, v4
	v_mul_lo_u32 v8, s0, v7
	v_mul_hi_u32 v9, s0, v4
	v_mul_lo_u32 v10, s20, v4
	v_add_nc_u32_e32 v8, v9, v8
	v_mul_lo_u32 v9, s0, v4
	v_add_nc_u32_e32 v8, v8, v10
	v_mul_hi_u32 v10, v4, v9
	v_mul_lo_u32 v11, v4, v8
	v_mul_hi_u32 v12, v4, v8
	v_mul_hi_u32 v13, v7, v9
	v_mul_lo_u32 v9, v7, v9
	v_mul_hi_u32 v14, v7, v8
	v_mul_lo_u32 v8, v7, v8
	v_add_co_u32 v10, vcc_lo, v10, v11
	v_add_co_ci_u32_e32 v11, vcc_lo, 0, v12, vcc_lo
	v_add_co_u32 v9, vcc_lo, v10, v9
	v_add_co_ci_u32_e32 v9, vcc_lo, v11, v13, vcc_lo
	v_add_co_ci_u32_e32 v10, vcc_lo, 0, v14, vcc_lo
	v_add_co_u32 v8, vcc_lo, v9, v8
	v_add_co_ci_u32_e32 v9, vcc_lo, 0, v10, vcc_lo
	v_add_co_u32 v4, vcc_lo, v4, v8
	v_add_co_ci_u32_e32 v7, vcc_lo, v7, v9, vcc_lo
	v_mul_hi_u32 v8, s0, v4
	v_mul_lo_u32 v10, s20, v4
	v_mul_lo_u32 v9, s0, v7
	v_add_nc_u32_e32 v8, v8, v9
	v_mul_lo_u32 v9, s0, v4
	v_add_nc_u32_e32 v8, v8, v10
	v_mul_hi_u32 v10, v4, v9
	v_mul_lo_u32 v11, v4, v8
	v_mul_hi_u32 v12, v4, v8
	v_mul_hi_u32 v13, v7, v9
	v_mul_lo_u32 v9, v7, v9
	v_mul_hi_u32 v14, v7, v8
	v_mul_lo_u32 v8, v7, v8
	v_add_co_u32 v10, vcc_lo, v10, v11
	v_add_co_ci_u32_e32 v11, vcc_lo, 0, v12, vcc_lo
	v_add_co_u32 v9, vcc_lo, v10, v9
	v_add_co_ci_u32_e32 v9, vcc_lo, v11, v13, vcc_lo
	v_add_co_ci_u32_e32 v10, vcc_lo, 0, v14, vcc_lo
	v_add_co_u32 v8, vcc_lo, v9, v8
	v_add_co_ci_u32_e32 v9, vcc_lo, 0, v10, vcc_lo
	v_add_co_u32 v4, vcc_lo, v4, v8
	v_add_co_ci_u32_e32 v11, vcc_lo, v7, v9, vcc_lo
	v_mul_hi_u32 v13, v5, v4
	v_mad_u64_u32 v[9:10], null, v6, v4, 0
	v_mad_u64_u32 v[7:8], null, v5, v11, 0
	;; [unrolled: 1-line block ×3, first 2 shown]
	v_add_co_u32 v4, vcc_lo, v13, v7
	v_add_co_ci_u32_e32 v7, vcc_lo, 0, v8, vcc_lo
	v_add_co_u32 v4, vcc_lo, v4, v9
	v_add_co_ci_u32_e32 v4, vcc_lo, v7, v10, vcc_lo
	v_add_co_ci_u32_e32 v7, vcc_lo, 0, v12, vcc_lo
	v_add_co_u32 v4, vcc_lo, v4, v11
	v_add_co_ci_u32_e32 v9, vcc_lo, 0, v7, vcc_lo
	v_mul_lo_u32 v10, s19, v4
	v_mad_u64_u32 v[7:8], null, s18, v4, 0
	v_mul_lo_u32 v11, s18, v9
	v_sub_co_u32 v7, vcc_lo, v5, v7
	v_add3_u32 v8, v8, v11, v10
	v_sub_nc_u32_e32 v10, v6, v8
	v_subrev_co_ci_u32_e64 v10, s0, s19, v10, vcc_lo
	v_add_co_u32 v11, s0, v4, 2
	v_add_co_ci_u32_e64 v12, s0, 0, v9, s0
	v_sub_co_u32 v13, s0, v7, s18
	v_sub_co_ci_u32_e32 v8, vcc_lo, v6, v8, vcc_lo
	v_subrev_co_ci_u32_e64 v10, s0, 0, v10, s0
	v_cmp_le_u32_e32 vcc_lo, s18, v13
	v_cmp_eq_u32_e64 s0, s19, v8
	v_cndmask_b32_e64 v13, 0, -1, vcc_lo
	v_cmp_le_u32_e32 vcc_lo, s19, v10
	v_cndmask_b32_e64 v14, 0, -1, vcc_lo
	v_cmp_le_u32_e32 vcc_lo, s18, v7
	;; [unrolled: 2-line block ×3, first 2 shown]
	v_cndmask_b32_e64 v15, 0, -1, vcc_lo
	v_cmp_eq_u32_e32 vcc_lo, s19, v10
	v_cndmask_b32_e64 v7, v15, v7, s0
	v_cndmask_b32_e32 v10, v14, v13, vcc_lo
	v_add_co_u32 v13, vcc_lo, v4, 1
	v_add_co_ci_u32_e32 v14, vcc_lo, 0, v9, vcc_lo
	v_cmp_ne_u32_e32 vcc_lo, 0, v10
	v_cndmask_b32_e32 v8, v14, v12, vcc_lo
	v_cndmask_b32_e32 v10, v13, v11, vcc_lo
	v_cmp_ne_u32_e32 vcc_lo, 0, v7
	v_cndmask_b32_e32 v9, v9, v8, vcc_lo
	v_cndmask_b32_e32 v8, v4, v10, vcc_lo
.LBB0_4:                                ;   in Loop: Header=BB0_2 Depth=1
	s_andn2_saveexec_b32 s0, s1
	s_cbranch_execz .LBB0_6
; %bb.5:                                ;   in Loop: Header=BB0_2 Depth=1
	v_cvt_f32_u32_e32 v4, s18
	s_sub_i32 s1, 0, s18
	v_rcp_iflag_f32_e32 v4, v4
	v_mul_f32_e32 v4, 0x4f7ffffe, v4
	v_cvt_u32_f32_e32 v4, v4
	v_mul_lo_u32 v7, s1, v4
	v_mul_hi_u32 v7, v4, v7
	v_add_nc_u32_e32 v4, v4, v7
	v_mul_hi_u32 v4, v5, v4
	v_mul_lo_u32 v7, v4, s18
	v_add_nc_u32_e32 v8, 1, v4
	v_sub_nc_u32_e32 v7, v5, v7
	v_subrev_nc_u32_e32 v9, s18, v7
	v_cmp_le_u32_e32 vcc_lo, s18, v7
	v_cndmask_b32_e32 v7, v7, v9, vcc_lo
	v_cndmask_b32_e32 v4, v4, v8, vcc_lo
	v_mov_b32_e32 v9, v3
	v_cmp_le_u32_e32 vcc_lo, s18, v7
	v_add_nc_u32_e32 v8, 1, v4
	v_cndmask_b32_e32 v8, v4, v8, vcc_lo
.LBB0_6:                                ;   in Loop: Header=BB0_2 Depth=1
	s_or_b32 exec_lo, exec_lo, s0
	s_load_dwordx2 s[0:1], s[6:7], 0x0
	v_mul_lo_u32 v4, v9, s18
	v_mul_lo_u32 v7, v8, s19
	v_mad_u64_u32 v[10:11], null, v8, s18, 0
	s_add_u32 s16, s16, 1
	s_addc_u32 s17, s17, 0
	s_add_u32 s6, s6, 8
	s_addc_u32 s7, s7, 0
	;; [unrolled: 2-line block ×3, first 2 shown]
	v_add3_u32 v4, v11, v7, v4
	v_sub_co_u32 v5, vcc_lo, v5, v10
	v_sub_co_ci_u32_e32 v4, vcc_lo, v6, v4, vcc_lo
	s_waitcnt lgkmcnt(0)
	v_mul_lo_u32 v6, s1, v5
	v_mul_lo_u32 v4, s0, v4
	v_mad_u64_u32 v[1:2], null, s0, v5, v[1:2]
	v_cmp_ge_u64_e64 s0, s[16:17], s[10:11]
	s_and_b32 vcc_lo, exec_lo, s0
	v_add3_u32 v2, v6, v2, v4
	s_cbranch_vccnz .LBB0_9
; %bb.7:                                ;   in Loop: Header=BB0_2 Depth=1
	v_mov_b32_e32 v5, v8
	v_mov_b32_e32 v6, v9
	s_branch .LBB0_2
.LBB0_8:
	v_mov_b32_e32 v9, v6
	v_mov_b32_e32 v8, v5
.LBB0_9:
	s_lshl_b64 s[0:1], s[10:11], 3
	v_mul_hi_u32 v3, 0x10db20b, v0
	s_add_u32 s0, s12, s0
	s_addc_u32 s1, s13, s1
	s_load_dwordx2 s[4:5], s[4:5], 0x20
	s_load_dwordx2 s[0:1], s[0:1], 0x0
	v_mul_u32_u24_e32 v3, 0xf3, v3
	v_sub_nc_u32_e32 v0, v0, v3
	v_add_nc_u32_e32 v7, 0x1e6, v0
	s_waitcnt lgkmcnt(0)
	v_cmp_gt_u64_e32 vcc_lo, s[4:5], v[8:9]
	v_mul_lo_u32 v5, s0, v9
	v_mul_lo_u32 v6, s1, v8
	v_mad_u64_u32 v[3:4], null, s0, v8, v[1:2]
	v_cmp_le_u64_e64 s0, s[4:5], v[8:9]
	v_add_nc_u32_e32 v2, 0xf3, v0
	v_add3_u32 v4, v6, v4, v5
	v_add_nc_u32_e32 v6, 0x2d9, v0
	s_and_saveexec_b32 s1, s0
	s_xor_b32 s0, exec_lo, s1
; %bb.10:
	v_add_nc_u32_e32 v2, 0xf3, v0
	v_add_nc_u32_e32 v7, 0x1e6, v0
	;; [unrolled: 1-line block ×3, first 2 shown]
; %bb.11:
	s_or_saveexec_b32 s1, s0
	v_lshlrev_b64 v[4:5], 2, v[3:4]
	s_xor_b32 exec_lo, exec_lo, s1
	s_cbranch_execz .LBB0_13
; %bb.12:
	v_mov_b32_e32 v1, 0
	v_lshlrev_b64 v[8:9], 2, v[0:1]
	v_add_co_u32 v1, s0, s2, v4
	v_add_co_ci_u32_e64 v3, s0, s3, v5, s0
	v_add_co_u32 v8, s0, v1, v8
	v_add_co_ci_u32_e64 v9, s0, v3, v9, s0
	;; [unrolled: 2-line block ×7, first 2 shown]
	s_clause 0xb
	global_load_dword v1, v[8:9], off
	global_load_dword v3, v[8:9], off offset:972
	global_load_dword v8, v[8:9], off offset:1944
	global_load_dword v9, v[10:11], off offset:868
	global_load_dword v10, v[10:11], off offset:1840
	global_load_dword v11, v[12:13], off offset:764
	global_load_dword v12, v[12:13], off offset:1736
	global_load_dword v13, v[14:15], off offset:660
	global_load_dword v14, v[14:15], off offset:1632
	global_load_dword v15, v[16:17], off offset:556
	global_load_dword v16, v[16:17], off offset:1528
	global_load_dword v17, v[18:19], off offset:452
	v_lshl_add_u32 v18, v0, 2, 0
	v_add_nc_u32_e32 v19, 0x780, v18
	v_add_nc_u32_e32 v20, 0xf00, v18
	;; [unrolled: 1-line block ×5, first 2 shown]
	s_waitcnt vmcnt(10)
	ds_write2_b32 v18, v1, v3 offset1:243
	s_waitcnt vmcnt(8)
	ds_write2_b32 v19, v8, v9 offset0:6 offset1:249
	s_waitcnt vmcnt(6)
	ds_write2_b32 v20, v10, v11 offset0:12 offset1:255
	;; [unrolled: 2-line block ×5, first 2 shown]
.LBB0_13:
	s_or_b32 exec_lo, exec_lo, s1
	v_lshlrev_b32_e32 v1, 2, v0
	s_waitcnt lgkmcnt(0)
	s_barrier
	buffer_gl0_inv
	v_mov_b32_e32 v37, 0xe38f
	v_add_nc_u32_e32 v10, 0, v1
	v_cmp_gt_u32_e64 s0, 0x51, v0
	s_add_u32 s1, s8, 0x2d78
	s_addc_u32 s4, s9, 0
	v_mul_u32_u24_sdwa v35, v7, v37 dst_sel:DWORD dst_unused:UNUSED_PAD src0_sel:WORD_0 src1_sel:DWORD
	v_add_nc_u32_e32 v11, 0x780, v10
	v_add_nc_u32_e32 v3, 0xf00, v10
	;; [unrolled: 1-line block ×5, first 2 shown]
	ds_read2_b32 v[8:9], v10 offset1:243
	ds_read2_b32 v[16:17], v11 offset0:6 offset1:249
	ds_read2_b32 v[18:19], v3 offset0:12 offset1:255
	;; [unrolled: 1-line block ×5, first 2 shown]
	v_mad_u32_u24 v12, v0, 20, v10
	s_waitcnt lgkmcnt(0)
	s_barrier
	buffer_gl0_inv
	v_mul_i32_i24_e32 v11, 6, v2
	v_add_nc_u32_e32 v38, 0x1a80, v10
	v_add_nc_u32_e32 v39, 0x2200, v10
	s_mov_b32 s5, exec_lo
	v_lshl_add_u32 v11, v11, 2, 0
	v_pk_add_f16 v29, v16, v20
	v_pk_add_f16 v26, v9, v19
	;; [unrolled: 1-line block ×3, first 2 shown]
	v_pk_add_f16 v20, v20, v24 neg_lo:[0,1] neg_hi:[0,1]
	v_pk_add_f16 v28, v8, v18
	v_pk_add_f16 v30, v18, v22
	v_pk_add_f16 v18, v18, v22 neg_lo:[0,1] neg_hi:[0,1]
	v_pk_fma_f16 v16, v31, 0.5, v16 op_sel_hi:[1,0,1] neg_lo:[1,0,0] neg_hi:[1,0,0]
	v_pk_add_f16 v32, v19, v23
	v_pk_add_f16 v19, v19, v23 neg_lo:[0,1] neg_hi:[0,1]
	v_pk_add_f16 v23, v26, v23
	v_pk_add_f16 v22, v28, v22
	v_pk_fma_f16 v26, 0x3aee, v20, v16 op_sel:[0,0,1] op_sel_hi:[0,1,0]
	v_pk_fma_f16 v16, 0x3aee, v20, v16 op_sel:[0,0,1] op_sel_hi:[0,1,0] neg_lo:[0,1,0] neg_hi:[0,1,0]
	v_pk_fma_f16 v8, v30, 0.5, v8 op_sel_hi:[1,0,1] neg_lo:[1,0,0] neg_hi:[1,0,0]
	v_pk_mul_f16 v18, 0x3aee, v18 op_sel_hi:[0,1]
	v_pk_add_f16 v33, v21, v25
	v_lshrrev_b32_e32 v28, 16, v26
	v_bfi_b32 v26, 0xffff, v26, v16
	v_pk_add_f16 v24, v29, v24
	v_pk_add_f16 v29, v8, v18 op_sel:[0,1] op_sel_hi:[1,0]
	v_pk_add_f16 v8, v8, v18 op_sel:[0,1] op_sel_hi:[1,0] neg_lo:[0,1] neg_hi:[0,1]
	v_mul_f16_e32 v18, 0x3aee, v16
	v_mul_f16_e32 v30, 0xbaee, v28
	v_pk_mul_f16 v31, v26, 0.5 op_sel_hi:[1,0]
	v_pk_add_f16 v27, v17, v21
	v_pk_add_f16 v21, v21, v25 neg_lo:[0,1] neg_hi:[0,1]
	v_pk_fma_f16 v17, v33, 0.5, v17 op_sel_hi:[1,0,1] neg_lo:[1,0,0] neg_hi:[1,0,0]
	v_fmac_f16_e32 v18, 0.5, v28
	v_fmac_f16_e32 v30, 0.5, v16
	v_pk_fma_f16 v16, 0xbaee3aee, v26, v31 op_sel:[0,0,1] op_sel_hi:[1,1,0] neg_lo:[0,0,1] neg_hi:[0,0,1]
	v_bfi_b32 v28, 0xffff, v8, v29
	v_pk_fma_f16 v26, 0x3aee, v21, v17 op_sel:[0,0,1] op_sel_hi:[0,1,0]
	v_pk_fma_f16 v9, v32, 0.5, v9 op_sel_hi:[1,0,1] neg_lo:[1,0,0] neg_hi:[1,0,0]
	v_add_f16_e32 v31, v29, v18
	v_add_f16_sdwa v32, v8, v30 dst_sel:DWORD dst_unused:UNUSED_PAD src0_sel:WORD_1 src1_sel:DWORD
	v_pack_b32_f16 v30, v30, v16
	v_pk_add_f16 v25, v27, v25
	v_pk_mul_f16 v19, 0x3aee, v19 op_sel_hi:[0,1]
	v_pk_add_f16 v27, v22, v24
	v_pk_add_f16 v22, v22, v24 neg_lo:[0,1] neg_hi:[0,1]
	v_pk_fma_f16 v17, 0x3aee, v21, v17 op_sel:[0,0,1] op_sel_hi:[0,1,0] neg_lo:[0,1,0] neg_hi:[0,1,0]
	v_pk_add_f16 v21, v28, v16
	v_sub_f16_sdwa v16, v29, v16 dst_sel:DWORD dst_unused:UNUSED_PAD src0_sel:WORD_1 src1_sel:WORD_1
	v_sub_f16_e32 v18, v29, v18
	v_lshrrev_b32_e32 v29, 16, v26
	v_pack_b32_f16 v28, v31, v32
	v_pk_add_f16 v8, v8, v30 op_sel:[1,0] op_sel_hi:[0,1] neg_lo:[0,1] neg_hi:[0,1]
	v_pk_add_f16 v24, v9, v19 op_sel:[0,1] op_sel_hi:[1,0]
	ds_write2_b32 v12, v21, v22 offset0:2 offset1:3
	ds_write2_b32 v12, v27, v28 offset1:1
	v_pk_add_f16 v9, v9, v19 op_sel:[0,1] op_sel_hi:[1,0] neg_lo:[0,1] neg_hi:[0,1]
	v_mul_f16_e32 v19, 0x3aee, v17
	v_mul_f16_e32 v22, 0xbaee, v29
	v_alignbit_b32 v16, v16, v8, 16
	v_pack_b32_f16 v18, v18, v8
	v_bfi_b32 v21, 0xffff, v26, v17
	v_and_b32_e32 v8, 0xff, v0
	v_fmac_f16_e32 v19, 0.5, v29
	v_fmac_f16_e32 v22, 0.5, v17
	ds_write2_b32 v12, v18, v16 offset0:4 offset1:5
	v_pk_mul_f16 v26, v21, 0.5 op_sel_hi:[1,0]
	v_mul_lo_u16 v28, 0xab, v8
	v_add_f16_e32 v12, v24, v19
	v_add_f16_sdwa v16, v9, v22 dst_sel:DWORD dst_unused:UNUSED_PAD src0_sel:WORD_1 src1_sel:DWORD
	v_bfi_b32 v27, 0xffff, v9, v24
	v_pk_fma_f16 v17, 0xbaee3aee, v21, v26 op_sel:[0,0,1] op_sel_hi:[1,1,0] neg_lo:[0,0,1] neg_hi:[0,0,1]
	v_lshrrev_b16 v28, 10, v28
	v_sub_f16_e32 v19, v24, v19
	v_pack_b32_f16 v12, v12, v16
	v_mov_b32_e32 v16, 0xaaab
	v_pack_b32_f16 v21, v22, v17
	v_mul_lo_u16 v22, v28, 6
	v_pk_add_f16 v18, v27, v17
	v_sub_f16_sdwa v17, v24, v17 dst_sel:DWORD dst_unused:UNUSED_PAD src0_sel:WORD_1 src1_sel:WORD_1
	v_mul_u32_u24_sdwa v16, v2, v16 dst_sel:DWORD dst_unused:UNUSED_PAD src0_sel:WORD_0 src1_sel:DWORD
	v_pk_add_f16 v9, v9, v21 op_sel:[1,0] op_sel_hi:[0,1] neg_lo:[0,1] neg_hi:[0,1]
	v_sub_nc_u16 v34, v0, v22
	v_mov_b32_e32 v24, 5
	v_pk_add_f16 v20, v23, v25
	v_lshrrev_b32_e32 v30, 18, v16
	v_pk_add_f16 v21, v23, v25 neg_lo:[0,1] neg_hi:[0,1]
	v_alignbit_b32 v17, v17, v9, 16
	v_pack_b32_f16 v9, v19, v9
	v_mul_u32_u24_sdwa v19, v34, v24 dst_sel:DWORD dst_unused:UNUSED_PAD src0_sel:BYTE_0 src1_sel:DWORD
	ds_write2_b32 v11, v20, v12 offset1:1
	ds_write2_b32 v11, v18, v21 offset0:2 offset1:3
	v_mul_lo_u16 v12, v30, 6
	v_mov_b32_e32 v29, 0x90
	ds_write2_b32 v11, v9, v17 offset0:4 offset1:5
	v_lshlrev_b32_e32 v9, 2, v19
	s_waitcnt lgkmcnt(0)
	v_sub_nc_u16 v17, v2, v12
	s_barrier
	buffer_gl0_inv
	global_load_dwordx4 v[20:23], v9, s[8:9]
	v_mul_u32_u24_sdwa v31, v2, v37 dst_sel:DWORD dst_unused:UNUSED_PAD src0_sel:WORD_0 src1_sel:DWORD
	v_mul_u32_u24_sdwa v12, v17, v24 dst_sel:DWORD dst_unused:UNUSED_PAD src0_sel:WORD_0 src1_sel:DWORD
	v_add_nc_u32_e32 v32, 0xb40, v10
	v_add_nc_u32_e32 v33, 0x12e0, v10
	v_mul_u32_u24_sdwa v42, v28, v29 dst_sel:DWORD dst_unused:UNUSED_PAD src0_sel:WORD_0 src1_sel:DWORD
	v_lshrrev_b32_e32 v41, 21, v31
	v_lshlrev_b32_e32 v12, 2, v12
	s_clause 0x2
	global_load_dwordx4 v[24:27], v12, s[8:9]
	global_load_dword v9, v9, s[8:9] offset:16
	global_load_dword v36, v12, s[8:9] offset:16
	v_lshl_add_u32 v12, v7, 2, 0
	ds_read2_b32 v[28:29], v32 offset0:9 offset1:252
	v_mul_u32_u24_e32 v45, 0x90, v30
	ds_read2_b32 v[30:31], v33 offset0:7 offset1:250
	ds_read2_b32 v[32:33], v38 offset0:5 offset1:248
	ds_read_b32 v43, v12
	v_mul_lo_u16 v16, v8, 57
	v_mov_b32_e32 v18, 2
	v_mov_b32_e32 v19, 3
	v_mul_lo_u16 v46, v41, 36
	v_mul_lo_u16 v8, v8, 19
	v_lshrrev_b16 v40, 11, v16
	v_lshlrev_b32_sdwa v34, v18, v34 dst_sel:DWORD dst_unused:UNUSED_PAD src0_sel:DWORD src1_sel:BYTE_0
	v_lshlrev_b32_sdwa v17, v18, v17 dst_sel:DWORD dst_unused:UNUSED_PAD src0_sel:DWORD src1_sel:WORD_0
	v_mad_i32_i24 v16, 0xffffffec, v2, v11
	v_sub_nc_u16 v46, v2, v46
	v_mul_lo_u16 v44, v40, 36
	v_add3_u32 v42, 0, v42, v34
	v_add3_u32 v17, 0, v45, v17
	s_waitcnt lgkmcnt(3)
	v_lshrrev_b32_e32 v51, 16, v29
	v_sub_nc_u16 v38, v0, v44
	s_waitcnt lgkmcnt(2)
	v_lshrrev_b32_e32 v52, 16, v31
	v_lshrrev_b32_e32 v44, 21, v35
	s_waitcnt lgkmcnt(0)
	v_lshrrev_b32_e32 v49, 16, v43
	ds_read_b32 v45, v10
	ds_read2_b32 v[34:35], v39 offset0:11 offset1:254
	ds_read_b32 v39, v16
	ds_read_b32 v48, v10 offset:10692
	v_lshrrev_b32_e32 v50, 16, v28
	v_lshrrev_b32_e32 v54, 16, v33
	s_waitcnt vmcnt(0) lgkmcnt(0)
	s_barrier
	buffer_gl0_inv
	v_lshlrev_b32_sdwa v47, v19, v38 dst_sel:DWORD dst_unused:UNUSED_PAD src0_sel:DWORD src1_sel:BYTE_0
	v_lshlrev_b32_sdwa v38, v18, v38 dst_sel:DWORD dst_unused:UNUSED_PAD src0_sel:DWORD src1_sel:BYTE_0
	v_mul_f16_sdwa v53, v20, v49 dst_sel:DWORD dst_unused:UNUSED_PAD src0_sel:WORD_1 src1_sel:DWORD
	v_mul_f16_sdwa v55, v20, v43 dst_sel:DWORD dst_unused:UNUSED_PAD src0_sel:WORD_1 src1_sel:DWORD
	;; [unrolled: 1-line block ×4, first 2 shown]
	v_fma_f16 v43, v20, v43, -v53
	v_mul_f16_sdwa v53, v22, v31 dst_sel:DWORD dst_unused:UNUSED_PAD src0_sel:WORD_1 src1_sel:DWORD
	v_fmac_f16_e32 v55, v20, v49
	v_mul_f16_sdwa v49, v22, v52 dst_sel:DWORD dst_unused:UNUSED_PAD src0_sel:WORD_1 src1_sel:DWORD
	v_mul_f16_sdwa v20, v23, v33 dst_sel:DWORD dst_unused:UNUSED_PAD src0_sel:WORD_1 src1_sel:DWORD
	v_fmac_f16_e32 v57, v21, v51
	v_fmac_f16_e32 v53, v22, v52
	v_mul_f16_sdwa v51, v23, v54 dst_sel:DWORD dst_unused:UNUSED_PAD src0_sel:WORD_1 src1_sel:DWORD
	v_lshrrev_b32_e32 v52, 16, v30
	v_fma_f16 v21, v21, v29, -v56
	v_fma_f16 v22, v22, v31, -v49
	v_mul_f16_sdwa v29, v50, v24 dst_sel:DWORD dst_unused:UNUSED_PAD src0_sel:DWORD src1_sel:WORD_1
	v_lshrrev_b32_e32 v31, 16, v32
	v_fmac_f16_e32 v20, v23, v54
	v_fma_f16 v23, v23, v33, -v51
	v_mul_f16_sdwa v33, v52, v25 dst_sel:DWORD dst_unused:UNUSED_PAD src0_sel:DWORD src1_sel:WORD_1
	v_mul_f16_sdwa v49, v28, v24 dst_sel:DWORD dst_unused:UNUSED_PAD src0_sel:DWORD src1_sel:WORD_1
	v_fma_f16 v28, v28, v24, -v29
	v_mul_f16_sdwa v29, v31, v26 dst_sel:DWORD dst_unused:UNUSED_PAD src0_sel:DWORD src1_sel:WORD_1
	v_lshrrev_b32_e32 v54, 16, v34
	v_fma_f16 v33, v30, v25, -v33
	v_mul_f16_sdwa v30, v30, v25 dst_sel:DWORD dst_unused:UNUSED_PAD src0_sel:DWORD src1_sel:WORD_1
	v_lshrrev_b32_e32 v56, 16, v35
	v_fma_f16 v29, v32, v26, -v29
	v_mul_f16_sdwa v32, v32, v26 dst_sel:DWORD dst_unused:UNUSED_PAD src0_sel:DWORD src1_sel:WORD_1
	v_fmac_f16_e32 v49, v50, v24
	v_mul_f16_sdwa v24, v34, v27 dst_sel:DWORD dst_unused:UNUSED_PAD src0_sel:DWORD src1_sel:WORD_1
	v_fmac_f16_e32 v30, v52, v25
	v_mul_f16_sdwa v25, v54, v27 dst_sel:DWORD dst_unused:UNUSED_PAD src0_sel:DWORD src1_sel:WORD_1
	v_fmac_f16_e32 v32, v31, v26
	v_lshrrev_b32_e32 v26, 16, v48
	v_fmac_f16_e32 v24, v54, v27
	v_mul_f16_sdwa v31, v9, v56 dst_sel:DWORD dst_unused:UNUSED_PAD src0_sel:WORD_1 src1_sel:DWORD
	v_fma_f16 v25, v34, v27, -v25
	v_mul_f16_sdwa v27, v9, v35 dst_sel:DWORD dst_unused:UNUSED_PAD src0_sel:WORD_1 src1_sel:DWORD
	v_mul_f16_sdwa v34, v26, v36 dst_sel:DWORD dst_unused:UNUSED_PAD src0_sel:DWORD src1_sel:WORD_1
	v_mul_f16_sdwa v50, v48, v36 dst_sel:DWORD dst_unused:UNUSED_PAD src0_sel:DWORD src1_sel:WORD_1
	v_lshrrev_b32_e32 v51, 16, v45
	v_fma_f16 v31, v9, v35, -v31
	v_fmac_f16_e32 v27, v9, v56
	v_fma_f16 v9, v48, v36, -v34
	v_fmac_f16_e32 v50, v26, v36
	v_add_f16_e32 v26, v45, v21
	v_add_f16_e32 v34, v21, v23
	v_lshrrev_b32_e32 v52, 16, v39
	v_sub_f16_e32 v35, v57, v20
	v_add_f16_e32 v36, v51, v57
	v_add_f16_e32 v48, v57, v20
	v_sub_f16_e32 v21, v21, v23
	v_add_f16_e32 v54, v43, v22
	v_sub_f16_e32 v57, v53, v27
	v_add_f16_e32 v23, v26, v23
	v_add_f16_e32 v26, v55, v53
	;; [unrolled: 1-line block ×3, first 2 shown]
	v_fmac_f16_e32 v45, -0.5, v34
	v_add_f16_e32 v34, v39, v33
	v_add_f16_e32 v56, v22, v31
	v_sub_f16_e32 v22, v22, v31
	v_add_f16_e32 v20, v36, v20
	v_add_f16_e32 v36, v33, v25
	v_fmac_f16_e32 v51, -0.5, v48
	v_sub_f16_e32 v48, v30, v24
	v_add_f16_e32 v31, v54, v31
	v_add_f16_e32 v54, v52, v30
	;; [unrolled: 1-line block ×3, first 2 shown]
	v_sub_f16_e32 v33, v33, v25
	v_add_f16_e32 v26, v26, v27
	v_add_f16_e32 v27, v29, v9
	v_fmac_f16_e32 v55, -0.5, v53
	v_sub_f16_e32 v53, v32, v50
	v_add_f16_e32 v25, v34, v25
	v_add_f16_e32 v34, v49, v32
	;; [unrolled: 1-line block ×3, first 2 shown]
	v_fmac_f16_e32 v43, -0.5, v56
	v_add_f16_e32 v56, v28, v29
	v_sub_f16_e32 v29, v29, v9
	v_fmac_f16_e32 v52, -0.5, v30
	v_fmac_f16_e32 v28, -0.5, v27
	;; [unrolled: 1-line block ×3, first 2 shown]
	v_add_f16_e32 v9, v56, v9
	v_add_f16_e32 v27, v34, v50
	v_fmamk_f16 v32, v21, 0xbaee, v51
	v_fmac_f16_e32 v51, 0x3aee, v21
	v_fmamk_f16 v21, v57, 0x3aee, v43
	v_fmamk_f16 v34, v22, 0xbaee, v55
	v_fmac_f16_e32 v39, -0.5, v36
	v_add_f16_e32 v24, v54, v24
	v_fmac_f16_e32 v43, 0xbaee, v57
	v_fmac_f16_e32 v55, 0x3aee, v22
	v_add_f16_e32 v22, v23, v31
	v_sub_f16_e32 v23, v23, v31
	v_fmamk_f16 v31, v33, 0xbaee, v52
	v_fmac_f16_e32 v52, 0x3aee, v33
	v_fmamk_f16 v33, v53, 0x3aee, v28
	v_fmamk_f16 v36, v29, 0xbaee, v49
	;; [unrolled: 1-line block ×3, first 2 shown]
	v_fmac_f16_e32 v45, 0xbaee, v35
	v_add_f16_e32 v35, v20, v26
	v_fmac_f16_e32 v28, 0xbaee, v53
	v_fmac_f16_e32 v49, 0x3aee, v29
	v_add_f16_e32 v29, v25, v9
	v_sub_f16_e32 v9, v25, v9
	v_mul_f16_e32 v25, 0x3aee, v34
	v_mul_f16_e32 v50, 0xbaee, v21
	v_sub_f16_e32 v20, v20, v26
	v_fmamk_f16 v26, v48, 0x3aee, v39
	v_fmac_f16_e32 v39, 0xbaee, v48
	v_add_f16_e32 v48, v24, v27
	v_sub_f16_e32 v24, v24, v27
	v_mul_f16_e32 v27, -0.5, v43
	v_mul_f16_e32 v53, -0.5, v55
	v_mul_f16_e32 v54, 0x3aee, v36
	v_mul_f16_e32 v57, 0xbaee, v33
	v_mul_f16_e32 v56, -0.5, v28
	v_pack_b32_f16 v22, v22, v35
	v_mul_f16_e32 v35, -0.5, v49
	v_fmac_f16_e32 v25, 0.5, v21
	v_fmac_f16_e32 v50, 0.5, v34
	v_fmac_f16_e32 v27, 0x3aee, v55
	v_fmac_f16_e32 v53, 0xbaee, v43
	v_fmac_f16_e32 v54, 0.5, v33
	v_fmac_f16_e32 v57, 0.5, v36
	v_fmac_f16_e32 v56, 0x3aee, v49
	v_fmac_f16_e32 v35, 0xbaee, v28
	v_add_f16_e32 v21, v30, v25
	v_add_f16_e32 v28, v32, v50
	v_pack_b32_f16 v20, v23, v20
	v_pack_b32_f16 v23, v29, v48
	;; [unrolled: 1-line block ×3, first 2 shown]
	v_add_f16_e32 v24, v45, v27
	v_add_f16_e32 v29, v51, v53
	v_sub_f16_e32 v25, v30, v25
	v_sub_f16_e32 v27, v45, v27
	;; [unrolled: 1-line block ×4, first 2 shown]
	v_add_f16_e32 v33, v26, v54
	v_add_f16_e32 v36, v31, v57
	;; [unrolled: 1-line block ×4, first 2 shown]
	v_sub_f16_e32 v26, v26, v54
	v_sub_f16_e32 v39, v39, v56
	;; [unrolled: 1-line block ×4, first 2 shown]
	v_pack_b32_f16 v21, v21, v28
	v_pack_b32_f16 v24, v24, v29
	;; [unrolled: 1-line block ×8, first 2 shown]
	ds_write2_b32 v42, v22, v21 offset1:6
	ds_write2_b32 v42, v24, v20 offset0:12 offset1:18
	ds_write2_b32 v42, v25, v27 offset0:24 offset1:30
	ds_write2_b32 v17, v23, v28 offset1:6
	ds_write2_b32 v17, v29, v9 offset0:12 offset1:18
	ds_write2_b32 v17, v26, v30 offset0:24 offset1:30
	v_mul_lo_u16 v24, v44, 36
	v_mul_u32_u24_sdwa v9, v6, v37 dst_sel:DWORD dst_unused:UNUSED_PAD src0_sel:WORD_0 src1_sel:DWORD
	s_waitcnt lgkmcnt(0)
	s_barrier
	buffer_gl0_inv
	v_sub_nc_u16 v30, v7, v24
	global_load_dwordx2 v[20:21], v47, s[8:9] offset:120
	v_lshlrev_b32_sdwa v17, v19, v46 dst_sel:DWORD dst_unused:UNUSED_PAD src0_sel:DWORD src1_sel:WORD_0
	v_lshrrev_b32_e32 v9, 21, v9
	v_mov_b32_e32 v34, 0x4bdb
	v_lshlrev_b32_sdwa v24, v19, v30 dst_sel:DWORD dst_unused:UNUSED_PAD src0_sel:DWORD src1_sel:WORD_0
	v_lshrrev_b16 v28, 2, v7
	global_load_dwordx2 v[22:23], v17, s[8:9] offset:120
	v_lshrrev_b16 v35, 11, v8
	v_mov_b32_e32 v32, 0x1b0
	global_load_dwordx2 v[24:25], v24, s[8:9] offset:120
	v_mul_lo_u16 v17, v9, 36
	v_mul_u32_u24_sdwa v28, v28, v34 dst_sel:DWORD dst_unused:UNUSED_PAD src0_sel:WORD_0 src1_sel:DWORD
	v_mul_lo_u16 v8, 0x6c, v35
	v_mul_u32_u24_sdwa v32, v40, v32 dst_sel:DWORD dst_unused:UNUSED_PAD src0_sel:WORD_0 src1_sel:DWORD
	v_mul_u32_u24_e32 v33, 0x1b0, v41
	v_sub_nc_u16 v31, v6, v17
	v_lshrrev_b32_e32 v39, 19, v28
	v_mul_u32_u24_e32 v40, 0x1b0, v44
	v_mul_u32_u24_e32 v41, 0x1b0, v9
	v_sub_nc_u16 v42, v0, v8
	v_lshlrev_b32_sdwa v17, v19, v31 dst_sel:DWORD dst_unused:UNUSED_PAD src0_sel:DWORD src1_sel:WORD_0
	v_lshlrev_b32_sdwa v45, v18, v46 dst_sel:DWORD dst_unused:UNUSED_PAD src0_sel:DWORD src1_sel:WORD_0
	;; [unrolled: 1-line block ×4, first 2 shown]
	v_add3_u32 v38, 0, v32, v38
	global_load_dwordx2 v[26:27], v17, s[8:9] offset:120
	v_lshrrev_b16 v17, 2, v2
	v_add3_u32 v45, 0, v33, v45
	v_add3_u32 v40, 0, v40, v30
	;; [unrolled: 1-line block ×3, first 2 shown]
	v_lshrrev_b16 v37, 2, v6
	v_mul_u32_u24_sdwa v29, v17, v34 dst_sel:DWORD dst_unused:UNUSED_PAD src0_sel:WORD_0 src1_sel:DWORD
	v_lshl_add_u32 v17, v6, 2, 0
	v_lshlrev_b32_sdwa v46, v19, v42 dst_sel:DWORD dst_unused:UNUSED_PAD src0_sel:DWORD src1_sel:BYTE_0
	v_lshlrev_b32_sdwa v42, v18, v42 dst_sel:DWORD dst_unused:UNUSED_PAD src0_sel:DWORD src1_sel:BYTE_0
	v_lshrrev_b32_e32 v36, 19, v29
	v_mul_lo_u16 v28, 0x6c, v36
	v_mul_u32_u24_e32 v36, 0x510, v36
	v_sub_nc_u16 v43, v2, v28
	ds_read_b32 v44, v10
	ds_read2_b32 v[8:9], v3 offset0:12 offset1:255
	ds_read2_b32 v[28:29], v14 offset0:8 offset1:251
	ds_read_b32 v47, v12
	ds_read2_b32 v[30:31], v13 offset0:2 offset1:245
	ds_read2_b32 v[32:33], v15 offset0:6 offset1:249
	ds_read_b32 v48, v16
	ds_read_b32 v49, v17
	s_waitcnt vmcnt(0) lgkmcnt(0)
	s_barrier
	buffer_gl0_inv
	v_lshrrev_b32_e32 v50, 16, v44
	v_lshrrev_b32_e32 v51, 16, v8
	;; [unrolled: 1-line block ×4, first 2 shown]
	v_mul_f16_sdwa v53, v20, v8 dst_sel:DWORD dst_unused:UNUSED_PAD src0_sel:WORD_1 src1_sel:DWORD
	v_mul_f16_sdwa v55, v21, v28 dst_sel:DWORD dst_unused:UNUSED_PAD src0_sel:WORD_1 src1_sel:DWORD
	;; [unrolled: 1-line block ×4, first 2 shown]
	v_fmac_f16_e32 v53, v20, v51
	v_lshrrev_b32_e32 v51, 16, v29
	v_fmac_f16_e32 v55, v21, v52
	v_mul_f16_sdwa v52, v22, v54 dst_sel:DWORD dst_unused:UNUSED_PAD src0_sel:WORD_1 src1_sel:DWORD
	v_fma_f16 v8, v20, v8, -v56
	v_fma_f16 v20, v21, v28, -v57
	v_mul_f16_sdwa v21, v23, v51 dst_sel:DWORD dst_unused:UNUSED_PAD src0_sel:WORD_1 src1_sel:DWORD
	v_mul_f16_sdwa v56, v23, v29 dst_sel:DWORD dst_unused:UNUSED_PAD src0_sel:WORD_1 src1_sel:DWORD
	v_fma_f16 v52, v22, v9, -v52
	v_mul_f16_sdwa v9, v22, v9 dst_sel:DWORD dst_unused:UNUSED_PAD src0_sel:WORD_1 src1_sel:DWORD
	v_lshrrev_b32_e32 v28, 16, v32
	v_fma_f16 v21, v23, v29, -v21
	v_lshrrev_b32_e32 v29, 16, v31
	v_lshrrev_b32_e32 v57, 16, v30
	v_fmac_f16_e32 v9, v22, v54
	v_mul_f16_sdwa v22, v24, v30 dst_sel:DWORD dst_unused:UNUSED_PAD src0_sel:WORD_1 src1_sel:DWORD
	v_fmac_f16_e32 v56, v23, v51
	v_mul_f16_sdwa v23, v32, v25 dst_sel:DWORD dst_unused:UNUSED_PAD src0_sel:DWORD src1_sel:WORD_1
	v_mul_f16_sdwa v51, v24, v57 dst_sel:DWORD dst_unused:UNUSED_PAD src0_sel:WORD_1 src1_sel:DWORD
	v_mul_f16_sdwa v54, v28, v25 dst_sel:DWORD dst_unused:UNUSED_PAD src0_sel:DWORD src1_sel:WORD_1
	v_fmac_f16_e32 v22, v24, v57
	v_lshrrev_b32_e32 v57, 16, v33
	v_fmac_f16_e32 v23, v28, v25
	v_mul_f16_sdwa v28, v29, v26 dst_sel:DWORD dst_unused:UNUSED_PAD src0_sel:DWORD src1_sel:WORD_1
	v_fma_f16 v24, v24, v30, -v51
	v_mul_f16_sdwa v51, v33, v27 dst_sel:DWORD dst_unused:UNUSED_PAD src0_sel:DWORD src1_sel:WORD_1
	v_mul_f16_sdwa v30, v57, v27 dst_sel:DWORD dst_unused:UNUSED_PAD src0_sel:DWORD src1_sel:WORD_1
	v_fma_f16 v25, v32, v25, -v54
	v_fma_f16 v28, v31, v26, -v28
	v_mul_f16_sdwa v31, v31, v26 dst_sel:DWORD dst_unused:UNUSED_PAD src0_sel:DWORD src1_sel:WORD_1
	v_lshrrev_b32_e32 v32, 16, v48
	v_fma_f16 v30, v33, v27, -v30
	v_fmac_f16_e32 v51, v57, v27
	v_add_f16_e32 v27, v8, v20
	v_fmac_f16_e32 v31, v29, v26
	v_sub_f16_e32 v29, v53, v55
	v_add_f16_e32 v57, v50, v53
	v_add_f16_e32 v53, v53, v55
	;; [unrolled: 1-line block ×3, first 2 shown]
	v_lshrrev_b32_e32 v33, 16, v47
	v_fmac_f16_e32 v44, -0.5, v27
	v_add_f16_e32 v27, v52, v21
	v_add_f16_e32 v55, v57, v55
	v_sub_f16_e32 v57, v9, v56
	v_fmac_f16_e32 v50, -0.5, v53
	v_add_f16_e32 v53, v32, v9
	v_add_f16_e32 v9, v9, v56
	v_sub_f16_e32 v8, v8, v20
	v_add_f16_e32 v20, v26, v20
	v_add_f16_e32 v26, v48, v52
	v_lshrrev_b32_e32 v54, 16, v49
	v_fmac_f16_e32 v48, -0.5, v27
	v_add_f16_e32 v27, v24, v25
	v_add_f16_e32 v53, v53, v56
	v_sub_f16_e32 v56, v22, v23
	v_fmac_f16_e32 v32, -0.5, v9
	v_add_f16_e32 v9, v33, v22
	v_add_f16_e32 v22, v22, v23
	v_sub_f16_e32 v52, v52, v21
	v_add_f16_e32 v21, v26, v21
	v_add_f16_e32 v26, v47, v24
	v_fmac_f16_e32 v47, -0.5, v27
	v_add_f16_e32 v27, v28, v30
	v_add_f16_e32 v9, v9, v23
	v_sub_f16_e32 v23, v31, v51
	v_fmac_f16_e32 v33, -0.5, v22
	v_add_f16_e32 v22, v54, v31
	v_add_f16_e32 v31, v31, v51
	v_sub_f16_e32 v24, v24, v25
	v_add_f16_e32 v25, v26, v25
	v_add_f16_e32 v26, v49, v28
	v_sub_f16_e32 v28, v28, v30
	v_fmac_f16_e32 v49, -0.5, v27
	v_fmac_f16_e32 v54, -0.5, v31
	v_fmamk_f16 v27, v29, 0x3aee, v44
	v_fmac_f16_e32 v44, 0xbaee, v29
	v_fmamk_f16 v29, v8, 0xbaee, v50
	v_add_f16_e32 v26, v26, v30
	v_add_f16_e32 v22, v22, v51
	v_fmac_f16_e32 v50, 0x3aee, v8
	v_fmamk_f16 v8, v57, 0x3aee, v48
	v_fmamk_f16 v30, v52, 0xbaee, v32
	v_fmac_f16_e32 v48, 0xbaee, v57
	v_fmac_f16_e32 v32, 0x3aee, v52
	v_fmamk_f16 v31, v56, 0x3aee, v47
	v_fmamk_f16 v51, v24, 0xbaee, v33
	v_fmac_f16_e32 v47, 0xbaee, v56
	v_fmac_f16_e32 v33, 0x3aee, v24
	v_fmamk_f16 v24, v23, 0x3aee, v49
	v_fmac_f16_e32 v49, 0xbaee, v23
	v_fmamk_f16 v23, v28, 0xbaee, v54
	v_fmac_f16_e32 v54, 0x3aee, v28
	v_pack_b32_f16 v20, v20, v55
	v_pack_b32_f16 v9, v25, v9
	;; [unrolled: 1-line block ×12, first 2 shown]
	ds_write2_b32 v38, v20, v25 offset1:36
	ds_write_b32 v38, v26 offset:288
	ds_write2_b32 v45, v21, v8 offset1:36
	ds_write_b32 v45, v27 offset:288
	;; [unrolled: 2-line block ×4, first 2 shown]
	v_mul_u32_u24_sdwa v8, v37, v34 dst_sel:DWORD dst_unused:UNUSED_PAD src0_sel:WORD_0 src1_sel:DWORD
	s_waitcnt lgkmcnt(0)
	s_barrier
	buffer_gl0_inv
	global_load_dwordx2 v[20:21], v46, s[8:9] offset:408
	v_lshrrev_b32_e32 v34, 19, v8
	v_mul_lo_u16 v24, 0x6c, v39
	v_lshlrev_b32_sdwa v9, v19, v43 dst_sel:DWORD dst_unused:UNUSED_PAD src0_sel:DWORD src1_sel:WORD_0
	v_mov_b32_e32 v29, 0x6523
	v_mov_b32_e32 v32, 0x510
	v_mul_lo_u16 v8, 0x6c, v34
	v_sub_nc_u16 v37, v7, v24
	global_load_dwordx2 v[22:23], v9, s[8:9] offset:408
	v_mul_u32_u24_sdwa v30, v7, v29 dst_sel:DWORD dst_unused:UNUSED_PAD src0_sel:WORD_0 src1_sel:DWORD
	v_mul_u32_u24_sdwa v31, v6, v29 dst_sel:DWORD dst_unused:UNUSED_PAD src0_sel:WORD_0 src1_sel:DWORD
	v_sub_nc_u16 v38, v6, v8
	v_mul_u32_u24_sdwa v45, v35, v32 dst_sel:DWORD dst_unused:UNUSED_PAD src0_sel:WORD_0 src1_sel:DWORD
	v_add_nc_u32_e32 v28, 0xffffffaf, v0
	v_lshrrev_b32_e32 v41, 23, v30
	v_lshrrev_b32_e32 v44, 23, v31
	v_lshlrev_b32_sdwa v8, v19, v38 dst_sel:DWORD dst_unused:UNUSED_PAD src0_sel:DWORD src1_sel:WORD_0
	v_mul_u32_u24_e32 v39, 0x510, v39
	v_cndmask_b32_e64 v40, v28, v2, s0
	v_mul_u32_u24_e32 v46, 0x510, v34
	v_lshlrev_b32_sdwa v43, v18, v43 dst_sel:DWORD dst_unused:UNUSED_PAD src0_sel:DWORD src1_sel:WORD_0
	global_load_dwordx2 v[26:27], v8, s[8:9] offset:408
	v_lshlrev_b32_sdwa v9, v19, v37 dst_sel:DWORD dst_unused:UNUSED_PAD src0_sel:DWORD src1_sel:WORD_0
	v_lshlrev_b32_e32 v8, 1, v0
	v_lshlrev_b32_sdwa v37, v18, v37 dst_sel:DWORD dst_unused:UNUSED_PAD src0_sel:DWORD src1_sel:WORD_0
	v_lshlrev_b32_sdwa v38, v18, v38 dst_sel:DWORD dst_unused:UNUSED_PAD src0_sel:DWORD src1_sel:WORD_0
	global_load_dwordx2 v[24:25], v9, s[8:9] offset:408
	ds_read2_b32 v[30:31], v3 offset0:12 offset1:255
	ds_read2_b32 v[32:33], v14 offset0:8 offset1:251
	v_mov_b32_e32 v9, 0
	v_lshlrev_b64 v[28:29], 2, v[8:9]
	v_lshlrev_b32_e32 v8, 1, v40
	v_lshlrev_b64 v[34:35], 2, v[8:9]
	v_add3_u32 v8, 0, v45, v42
	v_add3_u32 v42, 0, v36, v43
	v_add3_u32 v43, 0, v39, v37
	v_add3_u32 v45, 0, v46, v38
	ds_read_b32 v46, v10
	ds_read_b32 v47, v12
	ds_read2_b32 v[36:37], v15 offset0:6 offset1:249
	ds_read2_b32 v[38:39], v13 offset0:2 offset1:245
	ds_read_b32 v48, v16
	ds_read_b32 v49, v17
	v_add_co_u32 v28, s0, s8, v28
	s_waitcnt lgkmcnt(7)
	v_lshrrev_b32_e32 v50, 16, v30
	s_waitcnt lgkmcnt(6)
	v_lshrrev_b32_e32 v51, 16, v32
	v_lshrrev_b32_e32 v53, 16, v31
	v_add_co_ci_u32_e64 v29, s0, s9, v29, s0
	s_waitcnt vmcnt(0) lgkmcnt(0)
	s_barrier
	buffer_gl0_inv
	v_mul_f16_sdwa v52, v20, v30 dst_sel:DWORD dst_unused:UNUSED_PAD src0_sel:WORD_1 src1_sel:DWORD
	v_mul_f16_sdwa v54, v21, v32 dst_sel:DWORD dst_unused:UNUSED_PAD src0_sel:WORD_1 src1_sel:DWORD
	;; [unrolled: 1-line block ×4, first 2 shown]
	v_fmac_f16_e32 v52, v20, v50
	v_lshrrev_b32_e32 v50, 16, v33
	v_fmac_f16_e32 v54, v21, v51
	v_mul_f16_sdwa v51, v22, v53 dst_sel:DWORD dst_unused:UNUSED_PAD src0_sel:WORD_1 src1_sel:DWORD
	v_fma_f16 v20, v20, v30, -v55
	v_mul_f16_sdwa v55, v23, v33 dst_sel:DWORD dst_unused:UNUSED_PAD src0_sel:WORD_1 src1_sel:DWORD
	v_mul_f16_sdwa v30, v23, v50 dst_sel:DWORD dst_unused:UNUSED_PAD src0_sel:WORD_1 src1_sel:DWORD
	v_fma_f16 v21, v21, v32, -v56
	v_lshrrev_b32_e32 v32, 16, v36
	v_fma_f16 v51, v22, v31, -v51
	v_mul_f16_sdwa v31, v22, v31 dst_sel:DWORD dst_unused:UNUSED_PAD src0_sel:WORD_1 src1_sel:DWORD
	v_fma_f16 v30, v23, v33, -v30
	v_lshrrev_b32_e32 v33, 16, v39
	v_fmac_f16_e32 v55, v23, v50
	v_lshrrev_b32_e32 v56, 16, v38
	v_fmac_f16_e32 v31, v22, v53
	v_mul_f16_sdwa v23, v36, v25 dst_sel:DWORD dst_unused:UNUSED_PAD src0_sel:DWORD src1_sel:WORD_1
	v_mul_f16_sdwa v22, v24, v38 dst_sel:DWORD dst_unused:UNUSED_PAD src0_sel:WORD_1 src1_sel:DWORD
	v_mul_f16_sdwa v53, v32, v25 dst_sel:DWORD dst_unused:UNUSED_PAD src0_sel:DWORD src1_sel:WORD_1
	v_mul_f16_sdwa v50, v24, v56 dst_sel:DWORD dst_unused:UNUSED_PAD src0_sel:WORD_1 src1_sel:DWORD
	v_fmac_f16_e32 v23, v32, v25
	v_mul_f16_sdwa v32, v33, v26 dst_sel:DWORD dst_unused:UNUSED_PAD src0_sel:DWORD src1_sel:WORD_1
	v_fmac_f16_e32 v22, v24, v56
	v_lshrrev_b32_e32 v56, 16, v37
	v_fma_f16 v24, v24, v38, -v50
	v_fma_f16 v25, v36, v25, -v53
	;; [unrolled: 1-line block ×3, first 2 shown]
	v_mul_f16_sdwa v39, v39, v26 dst_sel:DWORD dst_unused:UNUSED_PAD src0_sel:DWORD src1_sel:WORD_1
	v_mul_f16_sdwa v36, v56, v27 dst_sel:DWORD dst_unused:UNUSED_PAD src0_sel:DWORD src1_sel:WORD_1
	v_lshrrev_b32_e32 v38, 16, v46
	v_mul_f16_sdwa v50, v37, v27 dst_sel:DWORD dst_unused:UNUSED_PAD src0_sel:DWORD src1_sel:WORD_1
	v_lshrrev_b32_e32 v53, 16, v47
	v_fmac_f16_e32 v39, v33, v26
	v_add_f16_e32 v26, v46, v20
	v_fma_f16 v36, v37, v27, -v36
	v_lshrrev_b32_e32 v37, 16, v48
	v_fmac_f16_e32 v50, v56, v27
	v_add_f16_e32 v33, v20, v21
	v_add_f16_e32 v56, v38, v52
	v_sub_f16_e32 v20, v20, v21
	v_add_f16_e32 v21, v26, v21
	v_sub_f16_e32 v26, v52, v54
	v_add_f16_e32 v52, v52, v54
	v_fmac_f16_e32 v46, -0.5, v33
	v_add_f16_e32 v33, v48, v51
	v_add_f16_e32 v54, v56, v54
	;; [unrolled: 1-line block ×3, first 2 shown]
	v_fmac_f16_e32 v38, -0.5, v52
	v_add_f16_e32 v52, v37, v31
	v_sub_f16_e32 v51, v51, v30
	v_add_f16_e32 v30, v33, v30
	v_sub_f16_e32 v33, v31, v55
	v_add_f16_e32 v31, v31, v55
	v_add_f16_e32 v52, v52, v55
	;; [unrolled: 1-line block ×3, first 2 shown]
	v_fmac_f16_e32 v48, -0.5, v56
	v_add_f16_e32 v56, v47, v24
	v_fmac_f16_e32 v37, -0.5, v31
	v_add_f16_e32 v31, v53, v22
	;; [unrolled: 2-line block ×3, first 2 shown]
	v_lshrrev_b32_e32 v27, 16, v49
	v_sub_f16_e32 v24, v24, v25
	v_add_f16_e32 v25, v56, v25
	v_sub_f16_e32 v56, v22, v23
	v_add_f16_e32 v22, v22, v23
	v_add_f16_e32 v23, v31, v23
	;; [unrolled: 1-line block ×3, first 2 shown]
	v_sub_f16_e32 v32, v32, v36
	v_add_f16_e32 v36, v55, v36
	v_add_f16_e32 v55, v39, v50
	v_fmac_f16_e32 v53, -0.5, v22
	v_add_f16_e32 v22, v27, v39
	v_sub_f16_e32 v39, v39, v50
	v_fmac_f16_e32 v49, -0.5, v31
	v_fmac_f16_e32 v27, -0.5, v55
	v_fmamk_f16 v31, v26, 0x3aee, v46
	v_fmac_f16_e32 v46, 0xbaee, v26
	v_fmamk_f16 v26, v20, 0xbaee, v38
	v_fmac_f16_e32 v38, 0x3aee, v20
	;; [unrolled: 2-line block ×4, first 2 shown]
	v_add_f16_e32 v22, v22, v50
	v_fmamk_f16 v50, v56, 0x3aee, v47
	v_fmamk_f16 v51, v24, 0xbaee, v53
	v_fmac_f16_e32 v47, 0xbaee, v56
	v_fmac_f16_e32 v53, 0x3aee, v24
	v_fmamk_f16 v24, v39, 0x3aee, v49
	v_fmac_f16_e32 v49, 0xbaee, v39
	v_fmamk_f16 v39, v32, 0xbaee, v27
	v_fmac_f16_e32 v27, 0x3aee, v32
	v_pack_b32_f16 v21, v21, v54
	v_pack_b32_f16 v23, v25, v23
	;; [unrolled: 1-line block ×12, first 2 shown]
	ds_write2_b32 v8, v21, v25 offset1:108
	ds_write_b32 v8, v26 offset:864
	ds_write2_b32 v42, v30, v20 offset1:108
	ds_write_b32 v42, v31 offset:864
	;; [unrolled: 2-line block ×4, first 2 shown]
	v_add_co_u32 v22, s0, s8, v34
	s_waitcnt lgkmcnt(0)
	s_barrier
	buffer_gl0_inv
	global_load_dwordx2 v[20:21], v[28:29], off offset:1272
	v_add_co_ci_u32_e64 v23, s0, s9, v35, s0
	v_mul_lo_u16 v8, 0x144, v41
	v_mul_lo_u16 v24, 0x144, v44
	v_cmp_lt_u32_e64 s0, 0x50, v0
	global_load_dwordx2 v[22:23], v[22:23], off offset:1272
	v_lshlrev_b32_e32 v30, 2, v40
	v_sub_nc_u16 v32, v7, v8
	v_sub_nc_u16 v8, v6, v24
	v_mul_u32_u24_e32 v34, 0xf30, v41
	v_lshlrev_b32_sdwa v19, v19, v32 dst_sel:DWORD dst_unused:UNUSED_PAD src0_sel:DWORD src1_sel:WORD_0
	v_and_b32_e32 v33, 0xffff, v8
	v_lshlrev_b32_sdwa v32, v18, v32 dst_sel:DWORD dst_unused:UNUSED_PAD src0_sel:DWORD src1_sel:WORD_0
	global_load_dwordx2 v[24:25], v19, s[8:9] offset:1272
	v_lshlrev_b32_e32 v8, 3, v33
	v_add3_u32 v43, 0, v34, v32
	v_lshl_add_u32 v44, v33, 2, 0
	global_load_dwordx2 v[26:27], v8, s[8:9] offset:1272
	v_cndmask_b32_e64 v19, 0, 0xf30, s0
	v_lshlrev_b32_e32 v8, 1, v2
	v_add_co_u32 v28, s0, 0x800, v28
	v_add_co_ci_u32_e64 v29, s0, 0, v29, s0
	v_add3_u32 v42, 0, v19, v30
	v_lshlrev_b64 v[30:31], 2, v[8:9]
	v_lshlrev_b32_e32 v8, 1, v7
	v_lshlrev_b64 v[18:19], 2, v[8:9]
	v_lshlrev_b32_e32 v8, 1, v6
	v_add_co_u32 v36, s0, s8, v30
	v_add_co_ci_u32_e64 v37, s0, s9, v31, s0
	v_lshlrev_b64 v[30:31], 2, v[8:9]
	ds_read_b32 v8, v10
	ds_read2_b32 v[32:33], v3 offset0:12 offset1:255
	ds_read2_b32 v[34:35], v14 offset0:8 offset1:251
	ds_read_b32 v45, v16
	v_add_co_u32 v38, s0, s8, v18
	v_add_co_ci_u32_e64 v39, s0, s9, v19, s0
	v_add_co_u32 v18, s0, 0x800, v36
	v_add_co_ci_u32_e64 v19, s0, 0, v37, s0
	;; [unrolled: 2-line block ×3, first 2 shown]
	ds_read_b32 v46, v12
	ds_read2_b32 v[38:39], v13 offset0:2 offset1:245
	ds_read2_b32 v[40:41], v15 offset0:6 offset1:249
	ds_read_b32 v47, v17
	s_waitcnt vmcnt(0) lgkmcnt(0)
	s_barrier
	buffer_gl0_inv
	v_lshrrev_b32_e32 v48, 16, v8
	v_lshrrev_b32_e32 v50, 16, v32
	;; [unrolled: 1-line block ×5, first 2 shown]
	v_mul_f16_sdwa v52, v20, v32 dst_sel:DWORD dst_unused:UNUSED_PAD src0_sel:WORD_1 src1_sel:DWORD
	v_mul_f16_sdwa v54, v21, v34 dst_sel:DWORD dst_unused:UNUSED_PAD src0_sel:WORD_1 src1_sel:DWORD
	v_mul_f16_sdwa v55, v20, v50 dst_sel:DWORD dst_unused:UNUSED_PAD src0_sel:WORD_1 src1_sel:DWORD
	v_mul_f16_sdwa v56, v21, v51 dst_sel:DWORD dst_unused:UNUSED_PAD src0_sel:WORD_1 src1_sel:DWORD
	v_fmac_f16_e32 v52, v20, v50
	v_lshrrev_b32_e32 v50, 16, v35
	v_fmac_f16_e32 v54, v21, v51
	v_mul_f16_sdwa v51, v22, v53 dst_sel:DWORD dst_unused:UNUSED_PAD src0_sel:WORD_1 src1_sel:DWORD
	v_fma_f16 v20, v20, v32, -v55
	v_mul_f16_sdwa v55, v23, v35 dst_sel:DWORD dst_unused:UNUSED_PAD src0_sel:WORD_1 src1_sel:DWORD
	v_mul_f16_sdwa v32, v23, v50 dst_sel:DWORD dst_unused:UNUSED_PAD src0_sel:WORD_1 src1_sel:DWORD
	v_fma_f16 v21, v21, v34, -v56
	v_fma_f16 v51, v22, v33, -v51
	v_mul_f16_sdwa v33, v22, v33 dst_sel:DWORD dst_unused:UNUSED_PAD src0_sel:WORD_1 src1_sel:DWORD
	v_lshrrev_b32_e32 v34, 16, v40
	v_fma_f16 v32, v23, v35, -v32
	v_lshrrev_b32_e32 v35, 16, v39
	v_lshrrev_b32_e32 v56, 16, v38
	v_fmac_f16_e32 v33, v22, v53
	v_mul_f16_sdwa v22, v24, v38 dst_sel:DWORD dst_unused:UNUSED_PAD src0_sel:WORD_1 src1_sel:DWORD
	v_fmac_f16_e32 v55, v23, v50
	v_mul_f16_sdwa v23, v40, v25 dst_sel:DWORD dst_unused:UNUSED_PAD src0_sel:DWORD src1_sel:WORD_1
	v_mul_f16_sdwa v50, v24, v56 dst_sel:DWORD dst_unused:UNUSED_PAD src0_sel:WORD_1 src1_sel:DWORD
	v_mul_f16_sdwa v53, v34, v25 dst_sel:DWORD dst_unused:UNUSED_PAD src0_sel:DWORD src1_sel:WORD_1
	v_fmac_f16_e32 v22, v24, v56
	v_lshrrev_b32_e32 v56, 16, v41
	v_fmac_f16_e32 v23, v34, v25
	v_mul_f16_sdwa v34, v35, v26 dst_sel:DWORD dst_unused:UNUSED_PAD src0_sel:DWORD src1_sel:WORD_1
	v_fma_f16 v24, v24, v38, -v50
	v_fma_f16 v25, v40, v25, -v53
	v_mul_f16_sdwa v38, v39, v26 dst_sel:DWORD dst_unused:UNUSED_PAD src0_sel:DWORD src1_sel:WORD_1
	v_mul_f16_sdwa v40, v56, v27 dst_sel:DWORD dst_unused:UNUSED_PAD src0_sel:DWORD src1_sel:WORD_1
	v_fma_f16 v34, v39, v26, -v34
	v_mul_f16_sdwa v39, v41, v27 dst_sel:DWORD dst_unused:UNUSED_PAD src0_sel:DWORD src1_sel:WORD_1
	v_add_f16_e32 v53, v48, v52
	v_lshrrev_b32_e32 v50, 16, v46
	v_fmac_f16_e32 v38, v35, v26
	v_fma_f16 v35, v41, v27, -v40
	v_fmac_f16_e32 v39, v56, v27
	v_add_f16_e32 v27, v8, v20
	v_add_f16_e32 v40, v20, v21
	v_sub_f16_e32 v41, v52, v54
	v_add_f16_e32 v52, v52, v54
	v_add_f16_e32 v56, v45, v51
	;; [unrolled: 1-line block ×4, first 2 shown]
	v_lshrrev_b32_e32 v26, 16, v47
	v_sub_f16_e32 v20, v20, v21
	v_add_f16_e32 v21, v27, v21
	v_add_f16_e32 v27, v51, v32
	v_fmac_f16_e32 v8, -0.5, v40
	v_sub_f16_e32 v40, v33, v55
	v_add_f16_e32 v33, v33, v55
	v_sub_f16_e32 v51, v51, v32
	v_fmac_f16_e32 v48, -0.5, v52
	v_add_f16_e32 v52, v46, v24
	v_add_f16_e32 v32, v56, v32
	;; [unrolled: 1-line block ×5, first 2 shown]
	v_fmac_f16_e32 v45, -0.5, v27
	v_sub_f16_e32 v27, v22, v23
	v_add_f16_e32 v22, v22, v23
	v_sub_f16_e32 v24, v24, v25
	v_fmac_f16_e32 v49, -0.5, v33
	v_add_f16_e32 v33, v47, v34
	v_add_f16_e32 v25, v52, v25
	;; [unrolled: 1-line block ×3, first 2 shown]
	v_fmac_f16_e32 v46, -0.5, v56
	v_sub_f16_e32 v56, v38, v39
	v_add_f16_e32 v23, v55, v23
	v_add_f16_e32 v55, v26, v38
	;; [unrolled: 1-line block ×3, first 2 shown]
	v_sub_f16_e32 v34, v34, v35
	v_fmac_f16_e32 v50, -0.5, v22
	v_add_f16_e32 v22, v33, v35
	v_fmac_f16_e32 v47, -0.5, v52
	v_fmac_f16_e32 v26, -0.5, v38
	v_fmamk_f16 v35, v41, 0x3aee, v8
	v_fmamk_f16 v38, v20, 0xbaee, v48
	v_pack_b32_f16 v21, v21, v53
	v_fmac_f16_e32 v8, 0xbaee, v41
	v_fmac_f16_e32 v48, 0x3aee, v20
	v_add_f16_e32 v33, v55, v39
	v_fmamk_f16 v20, v40, 0x3aee, v45
	v_fmamk_f16 v39, v51, 0xbaee, v49
	v_fmac_f16_e32 v45, 0xbaee, v40
	v_fmac_f16_e32 v49, 0x3aee, v51
	v_fmamk_f16 v40, v27, 0x3aee, v46
	v_fmac_f16_e32 v46, 0xbaee, v27
	v_fmamk_f16 v27, v24, 0xbaee, v50
	;; [unrolled: 2-line block ×4, first 2 shown]
	v_fmac_f16_e32 v26, 0x3aee, v34
	ds_write_b32 v10, v21
	v_pack_b32_f16 v21, v35, v38
	v_pack_b32_f16 v8, v8, v48
	;; [unrolled: 1-line block ×11, first 2 shown]
	ds_write_b32 v10, v21 offset:1296
	ds_write_b32 v10, v8 offset:2592
	ds_write_b32 v42, v32
	ds_write_b32 v42, v20 offset:1296
	ds_write_b32 v42, v25 offset:2592
	ds_write_b32 v43, v23
	ds_write_b32 v43, v27 offset:1296
	ds_write_b32 v43, v33 offset:2592
	ds_write_b32 v44, v22 offset:7776
	ds_write_b32 v44, v24 offset:9072
	ds_write_b32 v44, v26 offset:10368
	v_add_co_u32 v8, s0, s8, v30
	v_add_co_ci_u32_e64 v23, s0, s9, v31, s0
	s_waitcnt lgkmcnt(0)
	v_add_co_u32 v22, s0, 0x800, v8
	s_barrier
	buffer_gl0_inv
	s_clause 0x1
	global_load_dwordx2 v[20:21], v[28:29], off offset:1816
	global_load_dwordx2 v[18:19], v[18:19], off offset:1816
	v_add_co_ci_u32_e64 v23, s0, 0, v23, s0
	s_clause 0x1
	global_load_dwordx2 v[24:25], v[36:37], off offset:1816
	global_load_dwordx2 v[22:23], v[22:23], off offset:1816
	ds_read_b32 v8, v10
	ds_read_b32 v32, v16
	;; [unrolled: 1-line block ×3, first 2 shown]
	ds_read2_b32 v[26:27], v15 offset0:6 offset1:249
	ds_read_b32 v15, v17
	ds_read2_b32 v[28:29], v13 offset0:2 offset1:245
	ds_read2_b32 v[30:31], v3 offset0:12 offset1:255
	;; [unrolled: 1-line block ×3, first 2 shown]
	s_waitcnt vmcnt(0) lgkmcnt(0)
	s_barrier
	buffer_gl0_inv
	v_lshrrev_b32_e32 v3, 16, v8
	v_lshrrev_b32_e32 v34, 16, v32
	v_lshrrev_b32_e32 v35, 16, v33
	v_lshrrev_b32_e32 v36, 16, v26
	v_lshrrev_b32_e32 v39, 16, v27
	v_lshrrev_b32_e32 v38, 16, v29
	v_lshrrev_b32_e32 v40, 16, v30
	v_lshrrev_b32_e32 v41, 16, v13
	v_lshrrev_b32_e32 v42, 16, v31
	v_lshrrev_b32_e32 v43, 16, v14
	v_lshrrev_b32_e32 v44, 16, v28
	v_lshrrev_b32_e32 v37, 16, v15
	v_mul_f16_sdwa v45, v20, v40 dst_sel:DWORD dst_unused:UNUSED_PAD src0_sel:WORD_1 src1_sel:DWORD
	v_mul_f16_sdwa v46, v20, v30 dst_sel:DWORD dst_unused:UNUSED_PAD src0_sel:WORD_1 src1_sel:DWORD
	v_mul_f16_sdwa v47, v21, v41 dst_sel:DWORD dst_unused:UNUSED_PAD src0_sel:WORD_1 src1_sel:DWORD
	v_mul_f16_sdwa v48, v21, v13 dst_sel:DWORD dst_unused:UNUSED_PAD src0_sel:WORD_1 src1_sel:DWORD
	v_mul_f16_sdwa v49, v18, v42 dst_sel:DWORD dst_unused:UNUSED_PAD src0_sel:WORD_1 src1_sel:DWORD
	v_mul_f16_sdwa v50, v18, v31 dst_sel:DWORD dst_unused:UNUSED_PAD src0_sel:WORD_1 src1_sel:DWORD
	v_mul_f16_sdwa v51, v19, v43 dst_sel:DWORD dst_unused:UNUSED_PAD src0_sel:WORD_1 src1_sel:DWORD
	v_mul_f16_sdwa v52, v19, v14 dst_sel:DWORD dst_unused:UNUSED_PAD src0_sel:WORD_1 src1_sel:DWORD
	v_mul_f16_sdwa v53, v24, v44 dst_sel:DWORD dst_unused:UNUSED_PAD src0_sel:WORD_1 src1_sel:DWORD
	v_mul_f16_sdwa v54, v24, v28 dst_sel:DWORD dst_unused:UNUSED_PAD src0_sel:WORD_1 src1_sel:DWORD
	v_mul_f16_sdwa v55, v36, v25 dst_sel:DWORD dst_unused:UNUSED_PAD src0_sel:DWORD src1_sel:WORD_1
	v_mul_f16_sdwa v56, v26, v25 dst_sel:DWORD dst_unused:UNUSED_PAD src0_sel:DWORD src1_sel:WORD_1
	v_fmac_f16_e32 v46, v20, v40
	v_mul_f16_sdwa v40, v38, v22 dst_sel:DWORD dst_unused:UNUSED_PAD src0_sel:DWORD src1_sel:WORD_1
	v_fmac_f16_e32 v48, v21, v41
	v_mul_f16_sdwa v41, v29, v22 dst_sel:DWORD dst_unused:UNUSED_PAD src0_sel:DWORD src1_sel:WORD_1
	v_fma_f16 v20, v20, v30, -v45
	v_fma_f16 v13, v21, v13, -v47
	v_mul_f16_sdwa v21, v39, v23 dst_sel:DWORD dst_unused:UNUSED_PAD src0_sel:DWORD src1_sel:WORD_1
	v_mul_f16_sdwa v30, v27, v23 dst_sel:DWORD dst_unused:UNUSED_PAD src0_sel:DWORD src1_sel:WORD_1
	v_fma_f16 v31, v18, v31, -v49
	v_fmac_f16_e32 v50, v18, v42
	v_fma_f16 v14, v19, v14, -v51
	v_fmac_f16_e32 v52, v19, v43
	;; [unrolled: 2-line block ×6, first 2 shown]
	v_add_f16_e32 v22, v8, v20
	v_add_f16_e32 v23, v20, v13
	;; [unrolled: 1-line block ×6, first 2 shown]
	v_sub_f16_e32 v25, v46, v48
	v_sub_f16_e32 v20, v20, v13
	v_add_f16_e32 v28, v32, v31
	v_sub_f16_e32 v36, v50, v52
	v_add_f16_e32 v38, v34, v50
	v_add_f16_e32 v42, v18, v19
	;; [unrolled: 1-line block ×4, first 2 shown]
	v_sub_f16_e32 v49, v41, v30
	v_add_f16_e32 v50, v37, v41
	v_add_f16_e32 v41, v41, v30
	;; [unrolled: 1-line block ×3, first 2 shown]
	v_fmac_f16_e32 v8, -0.5, v23
	v_add_f16_e32 v22, v26, v48
	v_fmac_f16_e32 v3, -0.5, v27
	v_sub_f16_e32 v31, v31, v14
	v_fmac_f16_e32 v32, -0.5, v29
	v_fmac_f16_e32 v34, -0.5, v39
	v_add_f16_e32 v40, v33, v18
	v_sub_f16_e32 v43, v54, v56
	v_add_f16_e32 v44, v35, v54
	v_sub_f16_e32 v18, v18, v19
	;; [unrolled: 2-line block ×3, first 2 shown]
	v_add_f16_e32 v14, v28, v14
	v_fmac_f16_e32 v33, -0.5, v42
	v_fmac_f16_e32 v35, -0.5, v45
	;; [unrolled: 1-line block ×4, first 2 shown]
	v_fmamk_f16 v28, v25, 0x3aee, v8
	v_fmac_f16_e32 v8, 0xbaee, v25
	v_fmamk_f16 v25, v20, 0xbaee, v3
	v_pack_b32_f16 v13, v13, v22
	v_fmac_f16_e32 v3, 0x3aee, v20
	v_add_f16_e32 v23, v38, v52
	v_fmamk_f16 v20, v36, 0x3aee, v32
	v_fmamk_f16 v29, v31, 0xbaee, v34
	v_fmac_f16_e32 v32, 0xbaee, v36
	v_fmac_f16_e32 v34, 0x3aee, v31
	v_add_f16_e32 v19, v40, v19
	v_add_f16_e32 v26, v44, v56
	;; [unrolled: 1-line block ×4, first 2 shown]
	v_fmamk_f16 v30, v43, 0x3aee, v33
	v_fmac_f16_e32 v33, 0xbaee, v43
	v_fmamk_f16 v31, v18, 0xbaee, v35
	v_fmac_f16_e32 v35, 0x3aee, v18
	;; [unrolled: 2-line block ×4, first 2 shown]
	ds_write_b32 v10, v13
	v_pack_b32_f16 v13, v28, v25
	v_pack_b32_f16 v3, v8, v3
	;; [unrolled: 1-line block ×11, first 2 shown]
	ds_write_b32 v10, v13 offset:3888
	ds_write_b32 v10, v3 offset:7776
	ds_write_b32 v16, v14
	ds_write_b32 v16, v8 offset:3888
	ds_write_b32 v16, v20 offset:7776
	ds_write_b32 v12, v19
	;; [unrolled: 3-line block ×3, first 2 shown]
	ds_write_b32 v17, v18 offset:3888
	ds_write_b32 v17, v15 offset:7776
	s_waitcnt lgkmcnt(0)
	s_barrier
	buffer_gl0_inv
	ds_read_b32 v3, v10
	v_sub_nc_u32_e32 v13, 0, v1
                                        ; implicit-def: $vgpr15
                                        ; implicit-def: $vgpr1
                                        ; implicit-def: $vgpr14
	v_cmpx_ne_u32_e32 0, v0
	s_xor_b32 s5, exec_lo, s5
	s_cbranch_execz .LBB0_15
; %bb.14:
	v_mov_b32_e32 v1, v9
	v_lshlrev_b64 v[8:9], 2, v[0:1]
	v_add_co_u32 v8, s0, s1, v8
	v_add_co_ci_u32_e64 v9, s0, s4, v9, s0
	global_load_dword v1, v[8:9], off
	ds_read_b32 v8, v13 offset:11664
	s_waitcnt lgkmcnt(0)
	v_pk_add_f16 v9, v3, v8 neg_lo:[0,1] neg_hi:[0,1]
	v_pk_add_f16 v3, v8, v3
	v_bfi_b32 v8, 0xffff, v9, v3
	v_bfi_b32 v3, 0xffff, v3, v9
	v_pk_mul_f16 v8, v8, 0.5 op_sel_hi:[1,0]
	v_pk_mul_f16 v14, v3, 0.5 op_sel_hi:[1,0]
	s_waitcnt vmcnt(0)
	v_pk_mul_f16 v9, v1, v8 op_sel:[1,0]
	v_pk_mul_f16 v8, v1, v8 op_sel_hi:[0,1]
	v_pk_fma_f16 v1, v3, 0.5, v9 op_sel_hi:[1,0,1]
	v_sub_f16_e32 v3, v14, v9
	v_sub_f16_sdwa v9, v9, v14 dst_sel:DWORD dst_unused:UNUSED_PAD src0_sel:WORD_1 src1_sel:WORD_1
	v_pk_add_f16 v15, v1, v8 op_sel:[0,1] op_sel_hi:[1,0]
	v_pk_add_f16 v16, v1, v8 op_sel:[0,1] op_sel_hi:[1,0] neg_lo:[0,1] neg_hi:[0,1]
	v_sub_f16_sdwa v1, v3, v8 dst_sel:DWORD dst_unused:UNUSED_PAD src0_sel:DWORD src1_sel:WORD_1
	v_sub_f16_e32 v14, v9, v8
                                        ; implicit-def: $vgpr3
	v_bfi_b32 v15, 0xffff, v15, v16
.LBB0_15:
	s_or_saveexec_b32 s0, s5
	v_mul_i32_i24_e32 v9, 0xffffffec, v2
	s_xor_b32 exec_lo, exec_lo, s0
	s_cbranch_execz .LBB0_17
; %bb.16:
	v_mov_b32_e32 v14, 0
	s_waitcnt lgkmcnt(0)
	v_alignbit_b32 v1, s0, v3, 16
	ds_read_u16 v8, v14 offset:5834
	v_pk_add_f16 v15, v1, v3
	v_sub_f16_sdwa v1, v3, v3 dst_sel:DWORD dst_unused:UNUSED_PAD src0_sel:DWORD src1_sel:WORD_1
	v_pack_b32_f16 v15, v15, 0
	s_waitcnt lgkmcnt(0)
	v_xor_b32_e32 v3, 0x8000, v8
	ds_write_b16 v14, v3 offset:5834
.LBB0_17:
	s_or_b32 exec_lo, exec_lo, s0
	s_waitcnt lgkmcnt(0)
	v_mov_b32_e32 v3, 0
	v_lshlrev_b64 v[18:19], 2, v[2:3]
	v_mov_b32_e32 v8, v3
	v_add_nc_u32_e32 v2, 0x3cc, v0
	v_lshlrev_b64 v[7:8], 2, v[7:8]
	v_add_co_u32 v18, s0, s1, v18
	v_add_co_ci_u32_e64 v19, s0, s4, v19, s0
	v_add_co_u32 v7, s0, s1, v7
	global_load_dword v16, v[18:19], off
	v_add_co_ci_u32_e64 v8, s0, s4, v8, s0
	global_load_dword v8, v[7:8], off
	v_mov_b32_e32 v7, v3
	v_lshlrev_b64 v[6:7], 2, v[6:7]
	v_add_co_u32 v6, s0, s1, v6
	v_add_co_ci_u32_e64 v7, s0, s4, v7, s0
	global_load_dword v18, v[6:7], off
	v_lshlrev_b64 v[6:7], 2, v[2:3]
	v_add_nc_u32_e32 v2, 0x4bf, v0
	v_add_co_u32 v6, s0, s1, v6
	v_add_co_ci_u32_e64 v7, s0, s4, v7, s0
	global_load_dword v19, v[6:7], off
	v_lshlrev_b64 v[6:7], 2, v[2:3]
	v_add_co_u32 v6, s0, s1, v6
	v_add_co_ci_u32_e64 v7, s0, s4, v7, s0
	global_load_dword v2, v[6:7], off
	v_add_nc_u32_e32 v6, v11, v9
	ds_write_b16 v13, v14 offset:11666
	ds_write_b32 v10, v15
	ds_write_b16 v13, v1 offset:11664
	ds_read_b32 v1, v13 offset:10692
	ds_read_b32 v7, v6
	s_waitcnt lgkmcnt(0)
	v_pk_add_f16 v9, v7, v1 neg_lo:[0,1] neg_hi:[0,1]
	v_pk_add_f16 v1, v7, v1
	v_bfi_b32 v7, 0xffff, v9, v1
	v_bfi_b32 v1, 0xffff, v1, v9
	v_pk_mul_f16 v7, v7, 0.5 op_sel_hi:[1,0]
	v_pk_mul_f16 v1, v1, 0.5 op_sel_hi:[1,0]
	s_waitcnt vmcnt(4)
	v_pk_fma_f16 v9, v16, v7, v1 op_sel:[1,0,0]
	v_pk_mul_f16 v11, v16, v7 op_sel_hi:[0,1]
	v_pk_fma_f16 v14, v16, v7, v1 op_sel:[1,0,0] neg_lo:[1,0,0] neg_hi:[1,0,0]
	v_pk_fma_f16 v1, v16, v7, v1 op_sel:[1,0,0] neg_lo:[0,0,1] neg_hi:[0,0,1]
	v_pk_add_f16 v7, v9, v11 op_sel:[0,1] op_sel_hi:[1,0]
	v_pk_add_f16 v9, v9, v11 op_sel:[0,1] op_sel_hi:[1,0] neg_lo:[0,1] neg_hi:[0,1]
	v_pk_add_f16 v14, v14, v11 op_sel:[0,1] op_sel_hi:[1,0] neg_lo:[0,1] neg_hi:[0,1]
	;; [unrolled: 1-line block ×3, first 2 shown]
	v_bfi_b32 v7, 0xffff, v7, v9
	v_bfi_b32 v1, 0xffff, v14, v1
	ds_write_b32 v6, v7
	ds_write_b32 v13, v1 offset:10692
	ds_read_b32 v1, v12
	ds_read_b32 v6, v13 offset:9720
	s_waitcnt lgkmcnt(0)
	v_pk_add_f16 v7, v1, v6 neg_lo:[0,1] neg_hi:[0,1]
	v_pk_add_f16 v1, v1, v6
	v_bfi_b32 v6, 0xffff, v7, v1
	v_bfi_b32 v1, 0xffff, v1, v7
	v_pk_mul_f16 v6, v6, 0.5 op_sel_hi:[1,0]
	v_pk_mul_f16 v1, v1, 0.5 op_sel_hi:[1,0]
	s_waitcnt vmcnt(3)
	v_pk_mul_f16 v9, v8, v6 op_sel_hi:[0,1]
	v_pk_fma_f16 v7, v8, v6, v1 op_sel:[1,0,0]
	v_pk_fma_f16 v11, v8, v6, v1 op_sel:[1,0,0] neg_lo:[1,0,0] neg_hi:[1,0,0]
	v_pk_fma_f16 v1, v8, v6, v1 op_sel:[1,0,0] neg_lo:[0,0,1] neg_hi:[0,0,1]
	v_pk_add_f16 v6, v7, v9 op_sel:[0,1] op_sel_hi:[1,0]
	v_pk_add_f16 v7, v7, v9 op_sel:[0,1] op_sel_hi:[1,0] neg_lo:[0,1] neg_hi:[0,1]
	v_pk_add_f16 v8, v11, v9 op_sel:[0,1] op_sel_hi:[1,0] neg_lo:[0,1] neg_hi:[0,1]
	;; [unrolled: 1-line block ×3, first 2 shown]
	v_bfi_b32 v6, 0xffff, v6, v7
	v_bfi_b32 v1, 0xffff, v8, v1
	ds_write_b32 v12, v6
	ds_write_b32 v13, v1 offset:9720
	ds_read_b32 v1, v17
	ds_read_b32 v6, v13 offset:8748
	s_waitcnt lgkmcnt(0)
	v_pk_add_f16 v7, v1, v6 neg_lo:[0,1] neg_hi:[0,1]
	v_pk_add_f16 v1, v1, v6
	v_bfi_b32 v6, 0xffff, v7, v1
	v_bfi_b32 v1, 0xffff, v1, v7
	v_pk_mul_f16 v6, v6, 0.5 op_sel_hi:[1,0]
	v_pk_mul_f16 v1, v1, 0.5 op_sel_hi:[1,0]
	s_waitcnt vmcnt(2)
	v_pk_mul_f16 v8, v18, v6 op_sel_hi:[0,1]
	v_pk_fma_f16 v7, v18, v6, v1 op_sel:[1,0,0]
	v_pk_fma_f16 v9, v18, v6, v1 op_sel:[1,0,0] neg_lo:[1,0,0] neg_hi:[1,0,0]
	v_pk_fma_f16 v1, v18, v6, v1 op_sel:[1,0,0] neg_lo:[0,0,1] neg_hi:[0,0,1]
	v_pk_add_f16 v6, v7, v8 op_sel:[0,1] op_sel_hi:[1,0]
	v_pk_add_f16 v7, v7, v8 op_sel:[0,1] op_sel_hi:[1,0] neg_lo:[0,1] neg_hi:[0,1]
	v_pk_add_f16 v9, v9, v8 op_sel:[0,1] op_sel_hi:[1,0] neg_lo:[0,1] neg_hi:[0,1]
	;; [unrolled: 1-line block ×3, first 2 shown]
	v_bfi_b32 v6, 0xffff, v6, v7
	v_bfi_b32 v1, 0xffff, v9, v1
	ds_write_b32 v17, v6
	ds_write_b32 v13, v1 offset:8748
	ds_read_b32 v1, v10 offset:3888
	ds_read_b32 v6, v13 offset:7776
	s_waitcnt lgkmcnt(0)
	v_pk_add_f16 v7, v1, v6 neg_lo:[0,1] neg_hi:[0,1]
	v_pk_add_f16 v1, v1, v6
	v_bfi_b32 v6, 0xffff, v7, v1
	v_bfi_b32 v1, 0xffff, v1, v7
	v_pk_mul_f16 v6, v6, 0.5 op_sel_hi:[1,0]
	v_pk_mul_f16 v8, v1, 0.5 op_sel_hi:[1,0]
	s_waitcnt vmcnt(1)
	v_pk_mul_f16 v7, v19, v6 op_sel:[1,0]
	v_pk_mul_f16 v6, v19, v6 op_sel_hi:[0,1]
	v_pk_fma_f16 v1, v1, 0.5, v7 op_sel_hi:[1,0,1]
	v_sub_f16_sdwa v9, v7, v8 dst_sel:DWORD dst_unused:UNUSED_PAD src0_sel:WORD_1 src1_sel:WORD_1
	v_sub_f16_e32 v7, v8, v7
	v_pk_add_f16 v11, v1, v6 op_sel:[0,1] op_sel_hi:[1,0]
	v_pk_add_f16 v1, v1, v6 op_sel:[0,1] op_sel_hi:[1,0] neg_lo:[0,1] neg_hi:[0,1]
	v_sub_f16_e32 v8, v9, v6
	v_sub_f16_sdwa v6, v7, v6 dst_sel:DWORD dst_unused:UNUSED_PAD src0_sel:DWORD src1_sel:WORD_1
	v_bfi_b32 v1, 0xffff, v11, v1
	ds_write_b16 v13, v8 offset:7778
	ds_write_b32 v10, v1 offset:3888
	ds_write_b16 v13, v6 offset:7776
	ds_read_b32 v1, v10 offset:4860
	ds_read_b32 v6, v13 offset:6804
	s_waitcnt lgkmcnt(0)
	v_pk_add_f16 v7, v1, v6 neg_lo:[0,1] neg_hi:[0,1]
	v_pk_add_f16 v1, v1, v6
	v_bfi_b32 v6, 0xffff, v7, v1
	v_bfi_b32 v1, 0xffff, v1, v7
	v_pk_mul_f16 v6, v6, 0.5 op_sel_hi:[1,0]
	v_pk_mul_f16 v1, v1, 0.5 op_sel_hi:[1,0]
	s_waitcnt vmcnt(0)
	v_pk_mul_f16 v8, v2, v6 op_sel_hi:[0,1]
	v_pk_fma_f16 v7, v2, v6, v1 op_sel:[1,0,0]
	v_pk_fma_f16 v9, v2, v6, v1 op_sel:[1,0,0] neg_lo:[1,0,0] neg_hi:[1,0,0]
	v_pk_fma_f16 v1, v2, v6, v1 op_sel:[1,0,0] neg_lo:[0,0,1] neg_hi:[0,0,1]
	v_pk_add_f16 v2, v7, v8 op_sel:[0,1] op_sel_hi:[1,0]
	v_pk_add_f16 v6, v7, v8 op_sel:[0,1] op_sel_hi:[1,0] neg_lo:[0,1] neg_hi:[0,1]
	v_pk_add_f16 v7, v9, v8 op_sel:[0,1] op_sel_hi:[1,0] neg_lo:[0,1] neg_hi:[0,1]
	;; [unrolled: 1-line block ×3, first 2 shown]
	v_bfi_b32 v2, 0xffff, v2, v6
	v_bfi_b32 v1, 0xffff, v7, v1
	ds_write_b32 v10, v2 offset:4860
	ds_write_b32 v13, v1 offset:6804
	s_waitcnt lgkmcnt(0)
	s_barrier
	buffer_gl0_inv
	s_and_saveexec_b32 s0, vcc_lo
	s_cbranch_execz .LBB0_20
; %bb.18:
	v_add_nc_u32_e32 v2, 0x780, v10
	v_mov_b32_e32 v1, v3
	v_add_nc_u32_e32 v11, 0xf00, v10
	v_add_nc_u32_e32 v16, 0x1e40, v10
	ds_read2_b32 v[6:7], v10 offset1:243
	ds_read2_b32 v[8:9], v2 offset0:6 offset1:249
	v_add_co_u32 v2, vcc_lo, s2, v4
	v_add_co_ci_u32_e32 v3, vcc_lo, s3, v5, vcc_lo
	v_lshlrev_b64 v[4:5], 2, v[0:1]
	v_add_nc_u32_e32 v1, 0x16c0, v10
	v_add_nc_u32_e32 v18, 0x25e0, v10
	ds_read2_b32 v[10:11], v11 offset0:12 offset1:255
	v_add_co_u32 v4, vcc_lo, v2, v4
	ds_read2_b32 v[12:13], v1 offset0:2 offset1:245
	v_add_co_ci_u32_e32 v5, vcc_lo, v3, v5, vcc_lo
	v_add_co_u32 v14, vcc_lo, 0x800, v4
	s_waitcnt lgkmcnt(3)
	global_store_dword v[4:5], v6, off
	global_store_dword v[4:5], v7, off offset:972
	s_waitcnt lgkmcnt(2)
	global_store_dword v[4:5], v8, off offset:1944
	ds_read2_b32 v[16:17], v16 offset0:8 offset1:251
	ds_read2_b32 v[18:19], v18 offset0:6 offset1:249
	v_add_co_ci_u32_e32 v15, vcc_lo, 0, v5, vcc_lo
	v_add_co_u32 v6, vcc_lo, 0x1000, v4
	v_add_co_ci_u32_e32 v7, vcc_lo, 0, v5, vcc_lo
	v_add_co_u32 v20, vcc_lo, 0x1800, v4
	v_add_co_ci_u32_e32 v21, vcc_lo, 0, v5, vcc_lo
	global_store_dword v[14:15], v9, off offset:868
	s_waitcnt lgkmcnt(3)
	global_store_dword v[14:15], v10, off offset:1840
	global_store_dword v[6:7], v11, off offset:764
	s_waitcnt lgkmcnt(2)
	global_store_dword v[6:7], v12, off offset:1736
	global_store_dword v[20:21], v13, off offset:660
	v_add_co_u32 v6, vcc_lo, 0x2000, v4
	v_add_co_ci_u32_e32 v7, vcc_lo, 0, v5, vcc_lo
	v_add_co_u32 v4, vcc_lo, 0x2800, v4
	v_add_co_ci_u32_e32 v5, vcc_lo, 0, v5, vcc_lo
	v_cmp_eq_u32_e32 vcc_lo, 0xf2, v0
	s_waitcnt lgkmcnt(1)
	global_store_dword v[20:21], v16, off offset:1632
	global_store_dword v[6:7], v17, off offset:556
	s_waitcnt lgkmcnt(0)
	global_store_dword v[6:7], v18, off offset:1528
	global_store_dword v[4:5], v19, off offset:452
	s_and_b32 exec_lo, exec_lo, vcc_lo
	s_cbranch_execz .LBB0_20
; %bb.19:
	v_mov_b32_e32 v0, 0
	ds_read_b32 v4, v0 offset:11664
	v_add_co_u32 v0, vcc_lo, 0x2800, v2
	v_add_co_ci_u32_e32 v1, vcc_lo, 0, v3, vcc_lo
	s_waitcnt lgkmcnt(0)
	global_store_dword v[0:1], v4, off offset:1424
.LBB0_20:
	s_endpgm
	.section	.rodata,"a",@progbits
	.p2align	6, 0x0
	.amdhsa_kernel fft_rtc_fwd_len2916_factors_6_6_3_3_3_3_wgs_243_tpt_243_halfLds_half_ip_CI_unitstride_sbrr_R2C_dirReg
		.amdhsa_group_segment_fixed_size 0
		.amdhsa_private_segment_fixed_size 0
		.amdhsa_kernarg_size 88
		.amdhsa_user_sgpr_count 6
		.amdhsa_user_sgpr_private_segment_buffer 1
		.amdhsa_user_sgpr_dispatch_ptr 0
		.amdhsa_user_sgpr_queue_ptr 0
		.amdhsa_user_sgpr_kernarg_segment_ptr 1
		.amdhsa_user_sgpr_dispatch_id 0
		.amdhsa_user_sgpr_flat_scratch_init 0
		.amdhsa_user_sgpr_private_segment_size 0
		.amdhsa_wavefront_size32 1
		.amdhsa_uses_dynamic_stack 0
		.amdhsa_system_sgpr_private_segment_wavefront_offset 0
		.amdhsa_system_sgpr_workgroup_id_x 1
		.amdhsa_system_sgpr_workgroup_id_y 0
		.amdhsa_system_sgpr_workgroup_id_z 0
		.amdhsa_system_sgpr_workgroup_info 0
		.amdhsa_system_vgpr_workitem_id 0
		.amdhsa_next_free_vgpr 58
		.amdhsa_next_free_sgpr 21
		.amdhsa_reserve_vcc 1
		.amdhsa_reserve_flat_scratch 0
		.amdhsa_float_round_mode_32 0
		.amdhsa_float_round_mode_16_64 0
		.amdhsa_float_denorm_mode_32 3
		.amdhsa_float_denorm_mode_16_64 3
		.amdhsa_dx10_clamp 1
		.amdhsa_ieee_mode 1
		.amdhsa_fp16_overflow 0
		.amdhsa_workgroup_processor_mode 1
		.amdhsa_memory_ordered 1
		.amdhsa_forward_progress 0
		.amdhsa_shared_vgpr_count 0
		.amdhsa_exception_fp_ieee_invalid_op 0
		.amdhsa_exception_fp_denorm_src 0
		.amdhsa_exception_fp_ieee_div_zero 0
		.amdhsa_exception_fp_ieee_overflow 0
		.amdhsa_exception_fp_ieee_underflow 0
		.amdhsa_exception_fp_ieee_inexact 0
		.amdhsa_exception_int_div_zero 0
	.end_amdhsa_kernel
	.text
.Lfunc_end0:
	.size	fft_rtc_fwd_len2916_factors_6_6_3_3_3_3_wgs_243_tpt_243_halfLds_half_ip_CI_unitstride_sbrr_R2C_dirReg, .Lfunc_end0-fft_rtc_fwd_len2916_factors_6_6_3_3_3_3_wgs_243_tpt_243_halfLds_half_ip_CI_unitstride_sbrr_R2C_dirReg
                                        ; -- End function
	.section	.AMDGPU.csdata,"",@progbits
; Kernel info:
; codeLenInByte = 10012
; NumSgprs: 23
; NumVgprs: 58
; ScratchSize: 0
; MemoryBound: 0
; FloatMode: 240
; IeeeMode: 1
; LDSByteSize: 0 bytes/workgroup (compile time only)
; SGPRBlocks: 2
; VGPRBlocks: 7
; NumSGPRsForWavesPerEU: 23
; NumVGPRsForWavesPerEU: 58
; Occupancy: 16
; WaveLimiterHint : 1
; COMPUTE_PGM_RSRC2:SCRATCH_EN: 0
; COMPUTE_PGM_RSRC2:USER_SGPR: 6
; COMPUTE_PGM_RSRC2:TRAP_HANDLER: 0
; COMPUTE_PGM_RSRC2:TGID_X_EN: 1
; COMPUTE_PGM_RSRC2:TGID_Y_EN: 0
; COMPUTE_PGM_RSRC2:TGID_Z_EN: 0
; COMPUTE_PGM_RSRC2:TIDIG_COMP_CNT: 0
	.text
	.p2alignl 6, 3214868480
	.fill 48, 4, 3214868480
	.type	__hip_cuid_9554224d8023d8fa,@object ; @__hip_cuid_9554224d8023d8fa
	.section	.bss,"aw",@nobits
	.globl	__hip_cuid_9554224d8023d8fa
__hip_cuid_9554224d8023d8fa:
	.byte	0                               ; 0x0
	.size	__hip_cuid_9554224d8023d8fa, 1

	.ident	"AMD clang version 19.0.0git (https://github.com/RadeonOpenCompute/llvm-project roc-6.4.0 25133 c7fe45cf4b819c5991fe208aaa96edf142730f1d)"
	.section	".note.GNU-stack","",@progbits
	.addrsig
	.addrsig_sym __hip_cuid_9554224d8023d8fa
	.amdgpu_metadata
---
amdhsa.kernels:
  - .args:
      - .actual_access:  read_only
        .address_space:  global
        .offset:         0
        .size:           8
        .value_kind:     global_buffer
      - .offset:         8
        .size:           8
        .value_kind:     by_value
      - .actual_access:  read_only
        .address_space:  global
        .offset:         16
        .size:           8
        .value_kind:     global_buffer
      - .actual_access:  read_only
        .address_space:  global
        .offset:         24
        .size:           8
        .value_kind:     global_buffer
      - .offset:         32
        .size:           8
        .value_kind:     by_value
      - .actual_access:  read_only
        .address_space:  global
        .offset:         40
        .size:           8
        .value_kind:     global_buffer
      - .actual_access:  read_only
        .address_space:  global
        .offset:         48
        .size:           8
        .value_kind:     global_buffer
      - .offset:         56
        .size:           4
        .value_kind:     by_value
      - .actual_access:  read_only
        .address_space:  global
        .offset:         64
        .size:           8
        .value_kind:     global_buffer
      - .actual_access:  read_only
        .address_space:  global
        .offset:         72
        .size:           8
        .value_kind:     global_buffer
      - .address_space:  global
        .offset:         80
        .size:           8
        .value_kind:     global_buffer
    .group_segment_fixed_size: 0
    .kernarg_segment_align: 8
    .kernarg_segment_size: 88
    .language:       OpenCL C
    .language_version:
      - 2
      - 0
    .max_flat_workgroup_size: 243
    .name:           fft_rtc_fwd_len2916_factors_6_6_3_3_3_3_wgs_243_tpt_243_halfLds_half_ip_CI_unitstride_sbrr_R2C_dirReg
    .private_segment_fixed_size: 0
    .sgpr_count:     23
    .sgpr_spill_count: 0
    .symbol:         fft_rtc_fwd_len2916_factors_6_6_3_3_3_3_wgs_243_tpt_243_halfLds_half_ip_CI_unitstride_sbrr_R2C_dirReg.kd
    .uniform_work_group_size: 1
    .uses_dynamic_stack: false
    .vgpr_count:     58
    .vgpr_spill_count: 0
    .wavefront_size: 32
    .workgroup_processor_mode: 1
amdhsa.target:   amdgcn-amd-amdhsa--gfx1030
amdhsa.version:
  - 1
  - 2
...

	.end_amdgpu_metadata
